;; amdgpu-corpus repo=ROCm/rocFFT kind=compiled arch=gfx906 opt=O3
	.text
	.amdgcn_target "amdgcn-amd-amdhsa--gfx906"
	.amdhsa_code_object_version 6
	.protected	bluestein_single_fwd_len357_dim1_dp_op_CI_CI ; -- Begin function bluestein_single_fwd_len357_dim1_dp_op_CI_CI
	.globl	bluestein_single_fwd_len357_dim1_dp_op_CI_CI
	.p2align	8
	.type	bluestein_single_fwd_len357_dim1_dp_op_CI_CI,@function
bluestein_single_fwd_len357_dim1_dp_op_CI_CI: ; @bluestein_single_fwd_len357_dim1_dp_op_CI_CI
; %bb.0:
	v_mul_u32_u24_e32 v1, 0xf10, v0
	s_mov_b64 s[62:63], s[2:3]
	s_load_dwordx4 s[8:11], s[4:5], 0x28
	v_lshrrev_b32_e32 v1, 16, v1
	s_mov_b64 s[60:61], s[0:1]
	v_mad_u64_u32 v[73:74], s[0:1], s6, 11, v[1:2]
	v_mov_b32_e32 v74, 0
	s_add_u32 s60, s60, s7
	s_waitcnt lgkmcnt(0)
	v_cmp_gt_u64_e32 vcc, s[8:9], v[73:74]
	s_addc_u32 s61, s61, 0
	s_and_saveexec_b64 s[0:1], vcc
	s_cbranch_execz .LBB0_15
; %bb.1:
	s_load_dwordx4 s[0:3], s[4:5], 0x18
	s_load_dwordx2 s[6:7], s[4:5], 0x0
	v_mul_lo_u16_e32 v1, 17, v1
	v_sub_u16_e32 v146, v0, v1
	v_lshlrev_b32_e32 v119, 4, v146
	s_waitcnt lgkmcnt(0)
	s_load_dwordx4 s[12:15], s[0:1], 0x0
	s_waitcnt lgkmcnt(0)
	v_mad_u64_u32 v[0:1], s[0:1], s14, v73, 0
	v_mad_u64_u32 v[2:3], s[0:1], s12, v146, 0
	s_mul_hi_u32 s9, s12, 21
	s_mul_i32 s8, s12, 21
	v_mad_u64_u32 v[4:5], s[0:1], s15, v73, v[1:2]
	v_mad_u64_u32 v[5:6], s[0:1], s13, v146, v[3:4]
	v_mov_b32_e32 v1, v4
	v_lshlrev_b64 v[0:1], 4, v[0:1]
	v_mov_b32_e32 v3, v5
	v_mov_b32_e32 v6, s11
	v_lshlrev_b64 v[2:3], 4, v[2:3]
	v_add_co_u32_e32 v18, vcc, s10, v0
	v_addc_co_u32_e32 v19, vcc, v6, v1, vcc
	v_add_co_u32_e32 v4, vcc, v18, v2
	v_addc_co_u32_e32 v5, vcc, v19, v3, vcc
	s_mul_i32 s1, s13, 21
	v_mov_b32_e32 v6, s7
	v_add_co_u32_e32 v64, vcc, s6, v119
	s_add_i32 s9, s9, s1
	v_addc_co_u32_e32 v65, vcc, 0, v6, vcc
	s_lshl_b64 s[16:17], s[8:9], 4
	global_load_dwordx4 v[81:84], v119, s[6:7]
	global_load_dwordx4 v[0:3], v[4:5], off
	v_mov_b32_e32 v72, s17
	v_add_co_u32_e32 v4, vcc, s16, v4
	v_addc_co_u32_e32 v5, vcc, v5, v72, vcc
	v_add_co_u32_e32 v10, vcc, s16, v4
	v_addc_co_u32_e32 v11, vcc, v5, v72, vcc
	global_load_dwordx4 v[147:150], v119, s[6:7] offset:336
	global_load_dwordx4 v[124:127], v119, s[6:7] offset:672
	;; [unrolled: 1-line block ×9, first 2 shown]
	global_load_dwordx4 v[6:9], v[4:5], off
	v_add_co_u32_e32 v4, vcc, s16, v10
	v_addc_co_u32_e32 v5, vcc, v11, v72, vcc
	v_add_co_u32_e32 v14, vcc, s16, v4
	v_addc_co_u32_e32 v15, vcc, v5, v72, vcc
	global_load_dwordx4 v[10:13], v[10:11], off
	s_movk_i32 s1, 0x1000
	global_load_dwordx4 v[20:23], v[4:5], off
	v_add_co_u32_e32 v4, vcc, s16, v14
	v_addc_co_u32_e32 v5, vcc, v15, v72, vcc
	global_load_dwordx4 v[24:27], v[14:15], off
	v_add_co_u32_e32 v14, vcc, s16, v4
	v_addc_co_u32_e32 v15, vcc, v5, v72, vcc
	;; [unrolled: 3-line block ×7, first 2 shown]
	global_load_dwordx4 v[48:51], v[14:15], off
	global_load_dwordx4 v[52:55], v[4:5], off
	global_load_dwordx4 v[159:162], v119, s[6:7] offset:3360
	global_load_dwordx4 v[136:139], v119, s[6:7] offset:3696
	v_add_co_u32_e32 v4, vcc, s16, v4
	v_addc_co_u32_e32 v5, vcc, v5, v72, vcc
	global_load_dwordx4 v[56:59], v[4:5], off
	global_load_dwordx4 v[132:135], v119, s[6:7] offset:4032
	v_add_co_u32_e32 v4, vcc, s16, v4
	v_addc_co_u32_e32 v5, vcc, v5, v72, vcc
	global_load_dwordx4 v[60:63], v[4:5], off
	v_add_co_u32_e32 v16, vcc, s1, v64
	buffer_store_dword v64, off, s[60:63], 0 offset:196 ; 4-byte Folded Spill
	s_nop 0
	buffer_store_dword v65, off, s[60:63], 0 offset:200 ; 4-byte Folded Spill
	s_mov_b32 s0, 0xba2e8ba3
	s_waitcnt vmcnt(27)
	v_mul_f64 v[79:80], v[2:3], v[83:84]
	v_mul_f64 v[14:15], v[0:1], v[83:84]
	v_fma_f64 v[0:1], v[0:1], v[81:82], v[79:80]
	s_waitcnt vmcnt(16)
	v_mul_f64 v[79:80], v[10:11], v[126:127]
	s_waitcnt vmcnt(14)
	v_mul_f64 v[85:86], v[26:27], v[113:114]
	v_mul_f64 v[87:88], v[24:25], v[113:114]
	s_waitcnt vmcnt(10)
	v_mul_f64 v[89:90], v[40:41], v[97:98]
	v_addc_co_u32_e32 v17, vcc, 0, v65, vcc
	v_add_co_u32_e32 v4, vcc, s16, v4
	v_addc_co_u32_e32 v5, vcc, v5, v72, vcc
	global_load_dwordx4 v[64:67], v[4:5], off
	global_load_dwordx4 v[155:158], v[16:17], off offset:272
	global_load_dwordx4 v[120:123], v[16:17], off offset:608
	v_add_co_u32_e32 v4, vcc, s16, v4
	v_addc_co_u32_e32 v5, vcc, v5, v72, vcc
	global_load_dwordx4 v[68:71], v[4:5], off
	v_add_co_u32_e32 v4, vcc, s16, v4
	v_addc_co_u32_e32 v5, vcc, v5, v72, vcc
	global_load_dwordx4 v[140:143], v[16:17], off offset:944
	global_load_dwordx4 v[75:78], v[4:5], off
	global_load_dwordx4 v[151:154], v[16:17], off offset:1280
	s_nop 0
	buffer_store_dword v81, off, s[60:63], 0 offset:348 ; 4-byte Folded Spill
	s_nop 0
	buffer_store_dword v82, off, s[60:63], 0 offset:352 ; 4-byte Folded Spill
	buffer_store_dword v83, off, s[60:63], 0 offset:356 ; 4-byte Folded Spill
	;; [unrolled: 1-line block ×3, first 2 shown]
	v_mul_hi_u32 v72, v73, s0
	s_load_dwordx2 s[14:15], s[4:5], 0x38
	s_load_dwordx4 s[8:11], s[2:3], 0x0
	v_mul_f64 v[83:84], v[20:21], v[130:131]
	v_cmp_gt_u16_e32 vcc, 4, v146
	v_lshrrev_b32_e32 v72, 3, v72
	v_mul_lo_u32 v72, v72, 11
	v_fma_f64 v[2:3], v[2:3], v[81:82], -v[14:15]
	v_mov_b32_e32 v14, v73
	buffer_store_dword v14, off, s[60:63], 0 offset:496 ; 4-byte Folded Spill
	s_nop 0
	buffer_store_dword v15, off, s[60:63], 0 offset:500 ; 4-byte Folded Spill
	v_sub_u32_e32 v14, v73, v72
	v_mul_u32_u24_e32 v14, 0x165, v14
	v_lshlrev_b32_e32 v163, 4, v14
	v_add_u32_e32 v117, v119, v163
	buffer_store_dword v14, off, s[60:63], 0 offset:480 ; 4-byte Folded Spill
	ds_write_b128 v117, v[0:3]
	v_mul_f64 v[0:1], v[8:9], v[149:150]
	v_mul_f64 v[14:15], v[12:13], v[126:127]
	;; [unrolled: 1-line block ×4, first 2 shown]
	v_fma_f64 v[0:1], v[6:7], v[147:148], v[0:1]
	buffer_store_dword v147, off, s[60:63], 0 offset:412 ; 4-byte Folded Spill
	s_nop 0
	buffer_store_dword v148, off, s[60:63], 0 offset:416 ; 4-byte Folded Spill
	buffer_store_dword v149, off, s[60:63], 0 offset:420 ; 4-byte Folded Spill
	buffer_store_dword v150, off, s[60:63], 0 offset:424 ; 4-byte Folded Spill
	v_fma_f64 v[6:7], v[10:11], v[124:125], v[14:15]
	buffer_store_dword v124, off, s[60:63], 0 offset:316 ; 4-byte Folded Spill
	s_nop 0
	buffer_store_dword v125, off, s[60:63], 0 offset:320 ; 4-byte Folded Spill
	buffer_store_dword v126, off, s[60:63], 0 offset:324 ; 4-byte Folded Spill
	buffer_store_dword v127, off, s[60:63], 0 offset:328 ; 4-byte Folded Spill
	v_fma_f64 v[10:11], v[20:21], v[128:129], v[81:82]
	buffer_store_dword v128, off, s[60:63], 0 offset:332 ; 4-byte Folded Spill
	s_nop 0
	buffer_store_dword v129, off, s[60:63], 0 offset:336 ; 4-byte Folded Spill
	buffer_store_dword v130, off, s[60:63], 0 offset:340 ; 4-byte Folded Spill
	buffer_store_dword v131, off, s[60:63], 0 offset:344 ; 4-byte Folded Spill
	v_fma_f64 v[20:21], v[24:25], v[111:112], v[85:86]
	buffer_store_dword v111, off, s[60:63], 0 offset:284 ; 4-byte Folded Spill
	s_nop 0
	buffer_store_dword v112, off, s[60:63], 0 offset:288 ; 4-byte Folded Spill
	buffer_store_dword v113, off, s[60:63], 0 offset:292 ; 4-byte Folded Spill
	buffer_store_dword v114, off, s[60:63], 0 offset:296 ; 4-byte Folded Spill
	v_mul_f64 v[14:15], v[30:31], v[109:110]
	v_mul_f64 v[81:82], v[32:33], v[105:106]
	;; [unrolled: 1-line block ×3, first 2 shown]
	v_fma_f64 v[24:25], v[28:29], v[107:108], v[14:15]
	s_waitcnt vmcnt(33)
	v_mul_f64 v[14:15], v[58:59], v[134:135]
	v_fma_f64 v[2:3], v[8:9], v[147:148], -v[2:3]
	v_fma_f64 v[8:9], v[12:13], v[124:125], -v[79:80]
	v_mul_f64 v[79:80], v[34:35], v[105:106]
	v_fma_f64 v[12:13], v[22:23], v[128:129], -v[83:84]
	v_mul_f64 v[83:84], v[38:39], v[101:102]
	;; [unrolled: 2-line block ×3, first 2 shown]
	v_mul_f64 v[26:27], v[28:29], v[109:110]
	buffer_store_dword v107, off, s[60:63], 0 offset:268 ; 4-byte Folded Spill
	s_nop 0
	buffer_store_dword v108, off, s[60:63], 0 offset:272 ; 4-byte Folded Spill
	buffer_store_dword v109, off, s[60:63], 0 offset:276 ; 4-byte Folded Spill
	buffer_store_dword v110, off, s[60:63], 0 offset:280 ; 4-byte Folded Spill
	v_fma_f64 v[28:29], v[32:33], v[103:104], v[79:80]
	buffer_store_dword v103, off, s[60:63], 0 offset:252 ; 4-byte Folded Spill
	s_nop 0
	buffer_store_dword v104, off, s[60:63], 0 offset:256 ; 4-byte Folded Spill
	buffer_store_dword v105, off, s[60:63], 0 offset:260 ; 4-byte Folded Spill
	buffer_store_dword v106, off, s[60:63], 0 offset:264 ; 4-byte Folded Spill
	v_fma_f64 v[32:33], v[36:37], v[99:100], v[83:84]
	;; [unrolled: 6-line block ×3, first 2 shown]
	buffer_store_dword v95, off, s[60:63], 0 offset:220 ; 4-byte Folded Spill
	s_nop 0
	buffer_store_dword v96, off, s[60:63], 0 offset:224 ; 4-byte Folded Spill
	buffer_store_dword v97, off, s[60:63], 0 offset:228 ; 4-byte Folded Spill
	;; [unrolled: 1-line block ×3, first 2 shown]
	v_fma_f64 v[26:27], v[30:31], v[107:108], -v[26:27]
	v_fma_f64 v[30:31], v[34:35], v[103:104], -v[81:82]
	;; [unrolled: 1-line block ×4, first 2 shown]
	ds_write_b128 v117, v[0:3] offset:336
	ds_write_b128 v117, v[6:9] offset:672
	;; [unrolled: 1-line block ×8, first 2 shown]
	v_mul_f64 v[0:1], v[46:47], v[93:94]
	v_mul_f64 v[6:7], v[50:51], v[161:162]
	;; [unrolled: 1-line block ×3, first 2 shown]
	v_fma_f64 v[20:21], v[56:57], v[132:133], v[14:15]
	s_waitcnt vmcnt(44)
	v_mul_f64 v[14:15], v[62:63], v[157:158]
	s_waitcnt vmcnt(43)
	v_mul_f64 v[28:29], v[66:67], v[122:123]
	s_waitcnt vmcnt(41)
	v_mul_f64 v[32:33], v[70:71], v[142:143]
	s_waitcnt vmcnt(39)
	v_mul_f64 v[36:37], v[77:78], v[153:154]
	v_mul_f64 v[2:3], v[44:45], v[93:94]
	v_fma_f64 v[0:1], v[44:45], v[91:92], v[0:1]
	buffer_store_dword v91, off, s[60:63], 0 offset:204 ; 4-byte Folded Spill
	s_nop 0
	buffer_store_dword v92, off, s[60:63], 0 offset:208 ; 4-byte Folded Spill
	buffer_store_dword v93, off, s[60:63], 0 offset:212 ; 4-byte Folded Spill
	buffer_store_dword v94, off, s[60:63], 0 offset:216 ; 4-byte Folded Spill
	v_mul_f64 v[8:9], v[48:49], v[161:162]
	v_fma_f64 v[6:7], v[48:49], v[159:160], v[6:7]
	buffer_store_dword v159, off, s[60:63], 0 offset:460 ; 4-byte Folded Spill
	s_nop 0
	buffer_store_dword v160, off, s[60:63], 0 offset:464 ; 4-byte Folded Spill
	buffer_store_dword v161, off, s[60:63], 0 offset:468 ; 4-byte Folded Spill
	buffer_store_dword v162, off, s[60:63], 0 offset:472 ; 4-byte Folded Spill
	;; [unrolled: 7-line block ×3, first 2 shown]
	v_mul_f64 v[22:23], v[56:57], v[134:135]
	buffer_store_dword v132, off, s[60:63], 0 offset:364 ; 4-byte Folded Spill
	s_nop 0
	buffer_store_dword v133, off, s[60:63], 0 offset:368 ; 4-byte Folded Spill
	buffer_store_dword v134, off, s[60:63], 0 offset:372 ; 4-byte Folded Spill
	buffer_store_dword v135, off, s[60:63], 0 offset:376 ; 4-byte Folded Spill
	v_mul_f64 v[26:27], v[60:61], v[157:158]
	v_fma_f64 v[24:25], v[60:61], v[155:156], v[14:15]
	buffer_store_dword v155, off, s[60:63], 0 offset:444 ; 4-byte Folded Spill
	s_nop 0
	buffer_store_dword v156, off, s[60:63], 0 offset:448 ; 4-byte Folded Spill
	buffer_store_dword v157, off, s[60:63], 0 offset:452 ; 4-byte Folded Spill
	buffer_store_dword v158, off, s[60:63], 0 offset:456 ; 4-byte Folded Spill
	v_mul_f64 v[30:31], v[64:65], v[122:123]
	v_fma_f64 v[28:29], v[64:65], v[120:121], v[28:29]
	buffer_store_dword v120, off, s[60:63], 0 offset:300 ; 4-byte Folded Spill
	s_nop 0
	buffer_store_dword v121, off, s[60:63], 0 offset:304 ; 4-byte Folded Spill
	buffer_store_dword v122, off, s[60:63], 0 offset:308 ; 4-byte Folded Spill
	buffer_store_dword v123, off, s[60:63], 0 offset:312 ; 4-byte Folded Spill
	v_mul_f64 v[34:35], v[68:69], v[142:143]
	v_fma_f64 v[32:33], v[68:69], v[140:141], v[32:33]
	buffer_store_dword v140, off, s[60:63], 0 offset:396 ; 4-byte Folded Spill
	s_nop 0
	buffer_store_dword v141, off, s[60:63], 0 offset:400 ; 4-byte Folded Spill
	buffer_store_dword v142, off, s[60:63], 0 offset:404 ; 4-byte Folded Spill
	buffer_store_dword v143, off, s[60:63], 0 offset:408 ; 4-byte Folded Spill
	v_mul_f64 v[38:39], v[75:76], v[153:154]
	v_fma_f64 v[36:37], v[75:76], v[151:152], v[36:37]
	buffer_store_dword v151, off, s[60:63], 0 offset:428 ; 4-byte Folded Spill
	s_nop 0
	buffer_store_dword v152, off, s[60:63], 0 offset:432 ; 4-byte Folded Spill
	buffer_store_dword v153, off, s[60:63], 0 offset:436 ; 4-byte Folded Spill
	;; [unrolled: 1-line block ×3, first 2 shown]
	v_fma_f64 v[2:3], v[46:47], v[91:92], -v[2:3]
	v_fma_f64 v[8:9], v[50:51], v[159:160], -v[8:9]
	;; [unrolled: 1-line block ×8, first 2 shown]
	ds_write_b128 v117, v[0:3] offset:3024
	ds_write_b128 v117, v[6:9] offset:3360
	;; [unrolled: 1-line block ×8, first 2 shown]
	s_and_saveexec_b64 s[18:19], vcc
	s_cbranch_execz .LBB0_3
; %bb.2:
	buffer_load_dword v99, off, s[60:63], 0 offset:196 ; 4-byte Folded Reload
	buffer_load_dword v100, off, s[60:63], 0 offset:200 ; 4-byte Folded Reload
	v_mov_b32_e32 v0, 0xffffec10
	v_mad_u64_u32 v[40:41], s[0:1], s12, v0, v[4:5]
	s_mul_i32 s0, s13, 0xffffec10
	s_sub_i32 s0, s0, s12
	v_add_u32_e32 v41, s0, v41
	v_or_b32_e32 v46, 0x50, v146
	s_mul_i32 s0, s13, 0x2a0
	s_mul_hi_u32 s20, s12, 0x2a0
	v_or_b32_e32 v47, 0xa4, v146
	v_mad_u64_u32 v[56:57], s[2:3], s12, v46, 0
	s_add_i32 s20, s20, s0
	v_mad_u64_u32 v[60:61], s[0:1], s12, v47, 0
	v_or_b32_e32 v73, 0xf8, v146
	v_mad_u64_u32 v[91:92], s[0:1], s12, v73, 0
	v_mov_b32_e32 v72, s17
	v_mov_b32_e32 v42, v57
	;; [unrolled: 1-line block ×3, first 2 shown]
	v_add_co_u32_e64 v44, s[0:1], s16, v40
	v_addc_co_u32_e64 v45, s[0:1], v41, v72, s[0:1]
	v_mad_u64_u32 v[52:53], s[0:1], s13, v46, v[42:43]
	v_mad_u64_u32 v[58:59], s[0:1], s13, v47, v[43:44]
	v_add_co_u32_e64 v47, s[0:1], s16, v44
	s_mul_i32 s17, s12, 0x2a0
	v_addc_co_u32_e64 v48, s[0:1], v45, v72, s[0:1]
	v_mov_b32_e32 v49, s20
	v_add_co_u32_e64 v53, s[0:1], s17, v47
	v_addc_co_u32_e64 v54, s[0:1], v48, v49, s[0:1]
	v_add_co_u32_e64 v61, s[0:1], s16, v53
	v_addc_co_u32_e64 v62, s[0:1], v54, v72, s[0:1]
	;; [unrolled: 2-line block ×3, first 2 shown]
	v_mov_b32_e32 v66, s20
	v_add_co_u32_e64 v65, s[0:1], s17, v63
	v_mov_b32_e32 v57, v52
	v_addc_co_u32_e64 v66, s[0:1], v64, v66, s[0:1]
	v_lshlrev_b64 v[67:68], 4, v[56:57]
	v_add_co_u32_e64 v87, s[0:1], s16, v65
	v_addc_co_u32_e64 v88, s[0:1], v66, v72, s[0:1]
	v_add_co_u32_e64 v75, s[0:1], v18, v67
	v_mov_b32_e32 v89, v92
	v_addc_co_u32_e64 v76, s[0:1], v19, v68, s[0:1]
	v_mad_u64_u32 v[92:93], s[0:1], s13, v73, v[89:90]
	v_mov_b32_e32 v73, s20
	s_waitcnt vmcnt(0)
	global_load_dwordx4 v[0:3], v[99:100], off offset:272
	global_load_dwordx4 v[4:7], v[40:41], off
	global_load_dwordx4 v[8:11], v[99:100], off offset:608
	global_load_dwordx4 v[12:15], v[99:100], off offset:944
	;; [unrolled: 1-line block ×7, first 2 shown]
	global_load_dwordx4 v[40:43], v[44:45], off
	v_lshlrev_b64 v[91:92], 4, v[91:92]
	global_load_dwordx4 v[44:47], v[47:48], off
	s_waitcnt vmcnt(9)
	v_mul_f64 v[115:116], v[6:7], v[2:3]
	global_load_dwordx4 v[48:51], v[53:54], off
	v_mul_f64 v[144:145], v[4:5], v[2:3]
	global_load_dwordx4 v[52:55], v[61:62], off
	v_mov_b32_e32 v61, v58
	v_lshlrev_b64 v[69:70], 4, v[60:61]
	global_load_dwordx4 v[56:59], v[63:64], off
	v_add_co_u32_e64 v77, s[2:3], v18, v69
	v_addc_co_u32_e64 v78, s[0:1], v19, v70, s[2:3]
	global_load_dwordx4 v[60:63], v[65:66], off
	v_add_co_u32_e64 v103, s[0:1], s16, v87
	global_load_dwordx4 v[64:67], v[87:88], off
	global_load_dwordx4 v[68:71], v[75:76], off
	s_nop 0
	global_load_dwordx4 v[75:78], v[77:78], off
	v_addc_co_u32_e64 v104, s[0:1], v88, v72, s[0:1]
	v_add_co_u32_e64 v91, s[0:1], v18, v91
	v_addc_co_u32_e64 v92, s[0:1], v19, v92, s[0:1]
	v_add_co_u32_e64 v107, s[0:1], s17, v103
	;; [unrolled: 2-line block ×3, first 2 shown]
	v_or_b32_e32 v73, 0x14c, v146
	v_addc_co_u32_e64 v125, s[0:1], v108, v72, s[0:1]
	v_mad_u64_u32 v[132:133], s[0:1], s12, v73, 0
	global_load_dwordx4 v[79:82], v[99:100], off offset:2960
	global_load_dwordx4 v[83:86], v[99:100], off offset:3296
	global_load_dwordx4 v[87:90], v[103:104], off
	v_mov_b32_e32 v118, v133
	v_mad_u64_u32 v[133:134], s[0:1], s13, v73, v[118:119]
	v_add_co_u32_e64 v140, s[0:1], s16, v124
	v_lshlrev_b64 v[132:133], 4, v[132:133]
	v_addc_co_u32_e64 v141, s[0:1], v125, v72, s[0:1]
	global_load_dwordx4 v[91:94], v[91:92], off
	s_nop 0
	global_load_dwordx4 v[95:98], v[99:100], off offset:3632
	s_nop 0
	global_load_dwordx4 v[99:102], v[99:100], off offset:3968
	v_add_co_u32_e64 v18, s[0:1], v18, v132
	global_load_dwordx4 v[103:106], v[107:108], off
	v_addc_co_u32_e64 v19, s[0:1], v19, v133, s[0:1]
	global_load_dwordx4 v[107:110], v[124:125], off
	global_load_dwordx4 v[111:114], v[16:17], off offset:208
	global_load_dwordx4 v[120:123], v[16:17], off offset:544
	s_nop 0
	global_load_dwordx4 v[124:127], v[140:141], off
	global_load_dwordx4 v[128:131], v[16:17], off offset:880
	global_load_dwordx4 v[132:135], v[18:19], off
	v_lshlrev_b32_e32 v18, 4, v73
	global_load_dwordx4 v[136:139], v18, s[6:7]
	v_mov_b32_e32 v19, s20
	v_add_co_u32_e64 v18, s[0:1], s17, v140
	v_addc_co_u32_e64 v19, s[0:1], v141, v19, s[0:1]
	global_load_dwordx4 v[140:143], v[18:19], off
	s_nop 0
	global_load_dwordx4 v[16:19], v[16:17], off offset:1552
	v_fma_f64 v[2:3], v[4:5], v[0:1], v[115:116]
	v_fma_f64 v[4:5], v[6:7], v[0:1], -v[144:145]
	s_waitcnt vmcnt(24)
	v_mul_f64 v[0:1], v[42:43], v[10:11]
	s_waitcnt vmcnt(23)
	v_mul_f64 v[6:7], v[44:45], v[14:15]
	ds_write_b128 v117, v[2:5] offset:272
	v_mul_f64 v[2:3], v[40:41], v[10:11]
	v_mul_f64 v[4:5], v[46:47], v[14:15]
	v_fma_f64 v[0:1], v[40:41], v[8:9], v[0:1]
	v_fma_f64 v[6:7], v[46:47], v[12:13], -v[6:7]
	v_fma_f64 v[2:3], v[42:43], v[8:9], -v[2:3]
	v_fma_f64 v[4:5], v[44:45], v[12:13], v[4:5]
	s_waitcnt vmcnt(17)
	v_mul_f64 v[10:11], v[70:71], v[22:23]
	v_mul_f64 v[14:15], v[68:69], v[22:23]
	;; [unrolled: 1-line block ×4, first 2 shown]
	v_fma_f64 v[8:9], v[68:69], v[20:21], v[10:11]
	v_fma_f64 v[10:11], v[70:71], v[20:21], -v[14:15]
	v_fma_f64 v[12:13], v[48:49], v[24:25], v[22:23]
	v_mul_f64 v[20:21], v[54:55], v[30:31]
	v_mul_f64 v[22:23], v[52:53], v[30:31]
	v_fma_f64 v[14:15], v[50:51], v[24:25], -v[26:27]
	v_mul_f64 v[24:25], v[58:59], v[34:35]
	v_mul_f64 v[26:27], v[56:57], v[34:35]
	s_waitcnt vmcnt(16)
	v_mul_f64 v[30:31], v[77:78], v[38:39]
	v_mul_f64 v[34:35], v[75:76], v[38:39]
	s_waitcnt vmcnt(15)
	v_mul_f64 v[38:39], v[62:63], v[81:82]
	v_mul_f64 v[40:41], v[60:61], v[81:82]
	v_fma_f64 v[20:21], v[52:53], v[28:29], v[20:21]
	v_fma_f64 v[22:23], v[54:55], v[28:29], -v[22:23]
	v_fma_f64 v[24:25], v[56:57], v[32:33], v[24:25]
	v_fma_f64 v[26:27], v[58:59], v[32:33], -v[26:27]
	;; [unrolled: 2-line block ×4, first 2 shown]
	ds_write_b128 v117, v[0:3] offset:608
	ds_write_b128 v117, v[4:7] offset:944
	;; [unrolled: 1-line block ×8, first 2 shown]
	s_waitcnt vmcnt(14)
	v_mul_f64 v[0:1], v[66:67], v[85:86]
	v_mul_f64 v[2:3], v[64:65], v[85:86]
	s_waitcnt vmcnt(11)
	v_mul_f64 v[4:5], v[89:90], v[97:98]
	v_mul_f64 v[6:7], v[87:88], v[97:98]
	;; [unrolled: 3-line block ×7, first 2 shown]
	v_fma_f64 v[0:1], v[64:65], v[83:84], v[0:1]
	v_fma_f64 v[2:3], v[66:67], v[83:84], -v[2:3]
	s_waitcnt vmcnt(0)
	v_mul_f64 v[32:33], v[142:143], v[18:19]
	v_mul_f64 v[34:35], v[140:141], v[18:19]
	v_fma_f64 v[4:5], v[87:88], v[95:96], v[4:5]
	v_fma_f64 v[6:7], v[89:90], v[95:96], -v[6:7]
	v_fma_f64 v[8:9], v[91:92], v[99:100], v[8:9]
	v_fma_f64 v[10:11], v[93:94], v[99:100], -v[10:11]
	;; [unrolled: 2-line block ×7, first 2 shown]
	ds_write_b128 v117, v[0:3] offset:3296
	ds_write_b128 v117, v[4:7] offset:3632
	;; [unrolled: 1-line block ×8, first 2 shown]
.LBB0_3:
	s_or_b64 exec, exec, s[18:19]
	buffer_store_dword v163, off, s[60:63], 0 offset:476 ; 4-byte Folded Spill
	buffer_store_dword v146, off, s[60:63], 0 ; 4-byte Folded Spill
	s_waitcnt vmcnt(0) lgkmcnt(0)
	s_barrier
	ds_read_b128 v[56:59], v117
	ds_read_b128 v[60:63], v117 offset:336
	ds_read_b128 v[48:51], v117 offset:672
	;; [unrolled: 1-line block ×16, first 2 shown]
	s_load_dwordx2 s[2:3], s[4:5], 0x8
                                        ; implicit-def: $vgpr120_vgpr121
                                        ; implicit-def: $vgpr168_vgpr169
                                        ; implicit-def: $vgpr172_vgpr173
                                        ; implicit-def: $vgpr180_vgpr181
                                        ; implicit-def: $vgpr184_vgpr185
                                        ; implicit-def: $vgpr176_vgpr177
                                        ; implicit-def: $vgpr124_vgpr125
                                        ; implicit-def: $vgpr128_vgpr129
                                        ; implicit-def: $vgpr132_vgpr133
                                        ; implicit-def: $vgpr136_vgpr137
                                        ; implicit-def: $vgpr140_vgpr141
                                        ; implicit-def: $vgpr144_vgpr145
                                        ; implicit-def: $vgpr148_vgpr149
                                        ; implicit-def: $vgpr152_vgpr153
                                        ; implicit-def: $vgpr156_vgpr157
                                        ; implicit-def: $vgpr160_vgpr161
                                        ; implicit-def: $vgpr164_vgpr165
	s_and_saveexec_b64 s[0:1], vcc
	s_cbranch_execz .LBB0_5
; %bb.4:
	ds_read_b128 v[120:123], v117 offset:272
	ds_read_b128 v[168:171], v117 offset:608
	;; [unrolled: 1-line block ×17, first 2 shown]
.LBB0_5:
	s_or_b64 exec, exec, s[0:1]
	buffer_load_dword v74, off, s[60:63], 0 ; 4-byte Folded Reload
	s_waitcnt lgkmcnt(0)
	v_add_f64 v[70:71], v[58:59], v[62:63]
	v_add_f64 v[93:94], v[62:63], -v[66:67]
	s_mov_b32 s36, 0x5d8e7cdc
	s_mov_b32 s37, 0xbfd71e95
	v_add_f64 v[87:88], v[60:61], v[64:65]
	v_add_f64 v[91:92], v[60:61], -v[64:65]
	v_add_f64 v[89:90], v[62:63], v[66:67]
	s_mov_b32 s42, 0x2a9d6da3
	v_add_f64 v[70:71], v[70:71], v[50:51]
	s_mov_b32 s38, 0xeb564b22
	s_mov_b32 s43, 0xbfe58eea
	;; [unrolled: 1-line block ×3, first 2 shown]
	v_mul_f64 v[75:76], v[93:94], s[38:39]
	s_mov_b32 s4, 0x75d4884
	s_mov_b32 s16, 0x3259b75e
	s_mov_b32 s5, 0x3fe7a5f6
	v_add_f64 v[70:71], v[70:71], v[42:43]
	s_mov_b32 s17, 0x3fb79ee6
	s_mov_b32 s48, 0x7c9e640b
	;; [unrolled: 1-line block ×3, first 2 shown]
	v_fma_f64 v[77:78], v[87:88], s[16:17], -v[75:76]
	v_fma_f64 v[75:76], v[87:88], s[16:17], v[75:76]
	s_mov_b32 s28, 0x6c9a05f6
	s_mov_b32 s30, 0x4363dd80
	v_add_f64 v[70:71], v[70:71], v[34:35]
	s_mov_b32 s40, 0xacd6c6b4
	s_mov_b32 s49, 0xbfeca52d
	s_mov_b32 s27, 0xbfeec746
	v_add_f64 v[101:102], v[56:57], v[77:78]
	v_mul_f64 v[77:78], v[91:92], s[38:39]
	s_mov_b32 s29, 0xbfe9895b
	s_mov_b32 s31, 0xbfe0d888
	v_add_f64 v[70:71], v[70:71], v[26:27]
	s_mov_b32 s41, 0xbfc7851a
	v_add_f64 v[105:106], v[56:57], v[75:76]
	v_mul_f64 v[111:112], v[93:94], s[28:29]
	v_mul_f64 v[190:191], v[93:94], s[30:31]
	v_fma_f64 v[79:80], v[89:90], s[16:17], v[77:78]
	v_fma_f64 v[75:76], v[89:90], s[16:17], -v[77:78]
	v_mul_f64 v[77:78], v[93:94], s[26:27]
	v_add_f64 v[70:71], v[70:71], v[18:19]
	s_mov_b32 s12, 0x2b2883cd
	s_mov_b32 s18, 0xc61f0d01
	;; [unrolled: 1-line block ×7, first 2 shown]
	v_add_f64 v[70:71], v[70:71], v[10:11]
	s_mov_b32 s21, 0xbfe348c8
	s_mov_b32 s23, 0xbfeb34fa
	;; [unrolled: 1-line block ×3, first 2 shown]
	v_add_f64 v[103:104], v[58:59], v[79:80]
	v_add_f64 v[107:108], v[58:59], v[75:76]
	v_fma_f64 v[75:76], v[87:88], s[18:19], -v[77:78]
	v_mul_f64 v[79:80], v[91:92], s[26:27]
	v_add_f64 v[70:71], v[70:71], v[2:3]
	v_fma_f64 v[77:78], v[87:88], s[18:19], v[77:78]
	v_fma_f64 v[113:114], v[87:88], s[20:21], -v[111:112]
	v_mul_f64 v[115:116], v[91:92], s[28:29]
	v_fma_f64 v[111:112], v[87:88], s[20:21], v[111:112]
	v_fma_f64 v[192:193], v[87:88], s[22:23], -v[190:191]
	v_mul_f64 v[194:195], v[91:92], s[30:31]
	v_fma_f64 v[190:191], v[87:88], s[22:23], v[190:191]
	v_add_f64 v[70:71], v[70:71], v[6:7]
	v_add_f64 v[109:110], v[56:57], v[75:76]
	v_fma_f64 v[75:76], v[89:90], s[18:19], v[79:80]
	v_add_f64 v[77:78], v[56:57], v[77:78]
	v_fma_f64 v[79:80], v[89:90], s[18:19], -v[79:80]
	v_add_f64 v[113:114], v[56:57], v[113:114]
	v_fma_f64 v[188:189], v[89:90], s[20:21], v[115:116]
	v_add_f64 v[111:112], v[56:57], v[111:112]
	v_add_f64 v[70:71], v[70:71], v[14:15]
	v_fma_f64 v[115:116], v[89:90], s[20:21], -v[115:116]
	v_add_f64 v[192:193], v[56:57], v[192:193]
	v_fma_f64 v[196:197], v[89:90], s[22:23], v[194:195]
	v_add_f64 v[190:191], v[56:57], v[190:191]
	v_fma_f64 v[194:195], v[89:90], s[22:23], -v[194:195]
	v_add_f64 v[75:76], v[58:59], v[75:76]
	s_waitcnt vmcnt(0)
	v_add_co_u32_e64 v68, s[0:1], 17, v74
	buffer_store_dword v68, off, s[60:63], 0 offset:552 ; 4-byte Folded Spill
	v_add_f64 v[68:69], v[56:57], v[60:61]
	v_add_f64 v[70:71], v[70:71], v[22:23]
	v_mul_f64 v[60:61], v[93:94], s[36:37]
	s_mov_b32 s0, 0x370991
	s_mov_b32 s1, 0x3fedd6d0
	v_add_f64 v[79:80], v[58:59], v[79:80]
	v_add_f64 v[188:189], v[58:59], v[188:189]
	;; [unrolled: 1-line block ×5, first 2 shown]
	v_fma_f64 v[62:63], v[87:88], s[0:1], -v[60:61]
	v_fma_f64 v[60:61], v[87:88], s[0:1], v[60:61]
	v_add_f64 v[196:197], v[58:59], v[196:197]
	v_add_f64 v[194:195], v[58:59], v[194:195]
	s_mov_b32 s55, 0x3fe0d888
	s_mov_b32 s54, s30
	v_add_f64 v[68:69], v[68:69], v[40:41]
	v_add_f64 v[70:71], v[70:71], v[38:39]
	;; [unrolled: 1-line block ×3, first 2 shown]
	v_mul_f64 v[62:63], v[91:92], s[36:37]
	s_mov_b32 s53, 0x3feec746
	s_mov_b32 s52, s26
	;; [unrolled: 1-line block ×4, first 2 shown]
	v_add_f64 v[68:69], v[68:69], v[32:33]
	v_add_f64 v[70:71], v[70:71], v[46:47]
	s_mov_b32 s45, 0x3fd71e95
	s_mov_b32 s44, s36
	;; [unrolled: 1-line block ×6, first 2 shown]
	v_add_f64 v[68:69], v[68:69], v[24:25]
	v_add_f64 v[70:71], v[70:71], v[54:55]
	s_mov_b32 s57, 0x3fe9895b
	s_mov_b32 s56, s28
	;; [unrolled: 1-line block ×4, first 2 shown]
	v_add_f64 v[248:249], v[176:177], v[148:149]
	v_add_f64 v[250:251], v[178:179], v[150:151]
	;; [unrolled: 1-line block ×14, first 2 shown]
	v_fma_f64 v[64:65], v[89:90], s[0:1], v[62:63]
	buffer_store_dword v68, off, s[60:63], 0 offset:504 ; 4-byte Folded Spill
	s_nop 0
	buffer_store_dword v69, off, s[60:63], 0 offset:508 ; 4-byte Folded Spill
	buffer_store_dword v70, off, s[60:63], 0 offset:512 ; 4-byte Folded Spill
	;; [unrolled: 1-line block ×3, first 2 shown]
	v_add_f64 v[68:69], v[56:57], v[60:61]
	v_fma_f64 v[60:61], v[89:90], s[0:1], -v[62:63]
	v_add_f64 v[66:67], v[58:59], v[64:65]
	v_add_f64 v[70:71], v[58:59], v[60:61]
	v_mul_f64 v[60:61], v[93:94], s[42:43]
	v_fma_f64 v[62:63], v[87:88], s[4:5], -v[60:61]
	v_fma_f64 v[60:61], v[87:88], s[4:5], v[60:61]
	v_add_f64 v[97:98], v[56:57], v[62:63]
	v_mul_f64 v[62:63], v[91:92], s[42:43]
	v_add_f64 v[83:84], v[56:57], v[60:61]
	v_fma_f64 v[64:65], v[89:90], s[4:5], v[62:63]
	v_fma_f64 v[60:61], v[89:90], s[4:5], -v[62:63]
	v_mul_f64 v[62:63], v[93:94], s[48:49]
	v_mul_f64 v[93:94], v[93:94], s[40:41]
	v_add_f64 v[81:82], v[58:59], v[64:65]
	v_add_f64 v[85:86], v[58:59], v[60:61]
	v_fma_f64 v[60:61], v[87:88], s[12:13], -v[62:63]
	v_mul_f64 v[64:65], v[91:92], s[48:49]
	v_fma_f64 v[62:63], v[87:88], s[12:13], v[62:63]
	v_fma_f64 v[198:199], v[87:88], s[24:25], -v[93:94]
	v_mul_f64 v[91:92], v[91:92], s[40:41]
	v_fma_f64 v[87:88], v[87:88], s[24:25], v[93:94]
	v_add_f64 v[99:100], v[56:57], v[60:61]
	v_fma_f64 v[60:61], v[89:90], s[12:13], v[64:65]
	v_add_f64 v[62:63], v[56:57], v[62:63]
	v_fma_f64 v[64:65], v[89:90], s[12:13], -v[64:65]
	v_add_f64 v[198:199], v[56:57], v[198:199]
	v_fma_f64 v[200:201], v[89:90], s[24:25], v[91:92]
	v_add_f64 v[56:57], v[56:57], v[87:88]
	v_fma_f64 v[87:88], v[89:90], s[24:25], -v[91:92]
	v_add_f64 v[89:90], v[50:51], v[54:55]
	v_add_f64 v[50:51], v[50:51], -v[54:55]
	v_add_f64 v[60:61], v[58:59], v[60:61]
	v_add_f64 v[64:65], v[58:59], v[64:65]
	;; [unrolled: 1-line block ×5, first 2 shown]
	v_add_f64 v[48:49], v[48:49], -v[52:53]
	v_mul_f64 v[52:53], v[50:51], s[42:43]
	v_mul_f64 v[91:92], v[48:49], s[42:43]
	v_fma_f64 v[54:55], v[87:88], s[4:5], -v[52:53]
	v_fma_f64 v[52:53], v[87:88], s[4:5], v[52:53]
	v_fma_f64 v[93:94], v[89:90], s[4:5], v[91:92]
	v_add_f64 v[54:55], v[54:55], v[95:96]
	v_add_f64 v[52:53], v[52:53], v[68:69]
	v_fma_f64 v[68:69], v[89:90], s[4:5], -v[91:92]
	v_add_f64 v[66:67], v[93:94], v[66:67]
	v_mul_f64 v[93:94], v[48:49], s[38:39]
	v_add_f64 v[68:69], v[68:69], v[70:71]
	v_mul_f64 v[70:71], v[50:51], s[38:39]
	v_fma_f64 v[95:96], v[89:90], s[16:17], v[93:94]
	v_fma_f64 v[91:92], v[87:88], s[16:17], -v[70:71]
	v_fma_f64 v[70:71], v[87:88], s[16:17], v[70:71]
	v_add_f64 v[81:82], v[95:96], v[81:82]
	v_mul_f64 v[95:96], v[48:49], s[28:29]
	v_add_f64 v[91:92], v[91:92], v[97:98]
	v_add_f64 v[70:71], v[70:71], v[83:84]
	v_fma_f64 v[83:84], v[89:90], s[16:17], -v[93:94]
	v_fma_f64 v[97:98], v[89:90], s[20:21], v[95:96]
	v_add_f64 v[83:84], v[83:84], v[85:86]
	v_mul_f64 v[85:86], v[50:51], s[28:29]
	v_add_f64 v[60:61], v[97:98], v[60:61]
	v_mul_f64 v[97:98], v[48:49], s[40:41]
	v_fma_f64 v[93:94], v[87:88], s[20:21], -v[85:86]
	v_fma_f64 v[85:86], v[87:88], s[20:21], v[85:86]
	v_add_f64 v[93:94], v[93:94], v[99:100]
	v_add_f64 v[62:63], v[85:86], v[62:63]
	v_fma_f64 v[85:86], v[89:90], s[20:21], -v[95:96]
	v_fma_f64 v[99:100], v[89:90], s[24:25], v[97:98]
	v_fma_f64 v[97:98], v[89:90], s[24:25], -v[97:98]
	v_add_f64 v[64:65], v[85:86], v[64:65]
	v_mul_f64 v[85:86], v[50:51], s[40:41]
	v_add_f64 v[99:100], v[99:100], v[103:104]
	v_add_f64 v[97:98], v[97:98], v[107:108]
	v_fma_f64 v[95:96], v[87:88], s[24:25], -v[85:86]
	v_fma_f64 v[85:86], v[87:88], s[24:25], v[85:86]
	v_add_f64 v[95:96], v[95:96], v[101:102]
	v_mul_f64 v[101:102], v[50:51], s[54:55]
	v_add_f64 v[85:86], v[85:86], v[105:106]
	v_mul_f64 v[105:106], v[48:49], s[54:55]
	v_fma_f64 v[103:104], v[87:88], s[22:23], -v[101:102]
	v_fma_f64 v[101:102], v[87:88], s[22:23], v[101:102]
	v_fma_f64 v[107:108], v[89:90], s[22:23], v[105:106]
	v_add_f64 v[103:104], v[103:104], v[109:110]
	v_add_f64 v[77:78], v[101:102], v[77:78]
	v_fma_f64 v[101:102], v[89:90], s[22:23], -v[105:106]
	v_add_f64 v[75:76], v[107:108], v[75:76]
	v_mul_f64 v[107:108], v[48:49], s[52:53]
	v_add_f64 v[79:80], v[101:102], v[79:80]
	v_mul_f64 v[101:102], v[50:51], s[52:53]
	v_fma_f64 v[109:110], v[89:90], s[18:19], v[107:108]
	v_fma_f64 v[107:108], v[89:90], s[18:19], -v[107:108]
	v_fma_f64 v[105:106], v[87:88], s[18:19], -v[101:102]
	v_fma_f64 v[101:102], v[87:88], s[18:19], v[101:102]
	v_add_f64 v[107:108], v[107:108], v[115:116]
	v_mul_f64 v[115:116], v[48:49], s[34:35]
	v_mul_f64 v[48:49], v[48:49], s[44:45]
	v_add_f64 v[109:110], v[109:110], v[188:189]
	v_add_f64 v[105:106], v[105:106], v[113:114]
	;; [unrolled: 1-line block ×3, first 2 shown]
	v_mul_f64 v[111:112], v[50:51], s[34:35]
	v_mul_f64 v[50:51], v[50:51], s[44:45]
	v_fma_f64 v[188:189], v[89:90], s[12:13], v[115:116]
	v_fma_f64 v[115:116], v[89:90], s[12:13], -v[115:116]
	v_fma_f64 v[113:114], v[87:88], s[12:13], -v[111:112]
	v_fma_f64 v[111:112], v[87:88], s[12:13], v[111:112]
	v_add_f64 v[188:189], v[188:189], v[196:197]
	v_add_f64 v[115:116], v[115:116], v[194:195]
	;; [unrolled: 1-line block ×3, first 2 shown]
	v_fma_f64 v[192:193], v[89:90], s[0:1], v[48:49]
	v_fma_f64 v[48:49], v[89:90], s[0:1], -v[48:49]
	v_add_f64 v[111:112], v[111:112], v[190:191]
	v_fma_f64 v[190:191], v[87:88], s[0:1], -v[50:51]
	v_fma_f64 v[50:51], v[87:88], s[0:1], v[50:51]
	v_add_f64 v[192:193], v[192:193], v[200:201]
	v_add_f64 v[48:49], v[48:49], v[58:59]
	;; [unrolled: 1-line block ×3, first 2 shown]
	v_add_f64 v[42:43], v[42:43], -v[46:47]
	v_add_f64 v[50:51], v[50:51], v[56:57]
	v_add_f64 v[56:57], v[40:41], v[44:45]
	v_add_f64 v[40:41], v[40:41], -v[44:45]
	v_add_f64 v[190:191], v[190:191], v[198:199]
	v_mul_f64 v[44:45], v[42:43], s[48:49]
	v_fma_f64 v[46:47], v[56:57], s[12:13], -v[44:45]
	v_fma_f64 v[44:45], v[56:57], s[12:13], v[44:45]
	v_add_f64 v[46:47], v[46:47], v[54:55]
	v_mul_f64 v[54:55], v[40:41], s[48:49]
	v_add_f64 v[44:45], v[44:45], v[52:53]
	v_fma_f64 v[87:88], v[58:59], s[12:13], v[54:55]
	v_fma_f64 v[52:53], v[58:59], s[12:13], -v[54:55]
	v_mul_f64 v[54:55], v[42:43], s[28:29]
	v_add_f64 v[66:67], v[87:88], v[66:67]
	v_add_f64 v[52:53], v[52:53], v[68:69]
	v_fma_f64 v[68:69], v[56:57], s[20:21], -v[54:55]
	v_mul_f64 v[87:88], v[40:41], s[28:29]
	v_fma_f64 v[54:55], v[56:57], s[20:21], v[54:55]
	v_add_f64 v[68:69], v[68:69], v[91:92]
	v_fma_f64 v[89:90], v[58:59], s[20:21], v[87:88]
	v_add_f64 v[54:55], v[54:55], v[70:71]
	v_fma_f64 v[70:71], v[58:59], s[20:21], -v[87:88]
	v_add_f64 v[81:82], v[89:90], v[81:82]
	v_mul_f64 v[89:90], v[40:41], s[58:59]
	v_add_f64 v[70:71], v[70:71], v[83:84]
	v_mul_f64 v[83:84], v[42:43], s[58:59]
	v_fma_f64 v[91:92], v[58:59], s[24:25], v[89:90]
	v_fma_f64 v[87:88], v[56:57], s[24:25], -v[83:84]
	v_fma_f64 v[83:84], v[56:57], s[24:25], v[83:84]
	v_add_f64 v[60:61], v[91:92], v[60:61]
	v_mul_f64 v[91:92], v[40:41], s[52:53]
	v_add_f64 v[87:88], v[87:88], v[93:94]
	v_add_f64 v[62:63], v[83:84], v[62:63]
	v_fma_f64 v[83:84], v[58:59], s[24:25], -v[89:90]
	v_fma_f64 v[93:94], v[58:59], s[18:19], v[91:92]
	v_add_f64 v[64:65], v[83:84], v[64:65]
	v_mul_f64 v[83:84], v[42:43], s[52:53]
	v_add_f64 v[93:94], v[93:94], v[99:100]
	v_fma_f64 v[89:90], v[56:57], s[18:19], -v[83:84]
	v_fma_f64 v[83:84], v[56:57], s[18:19], v[83:84]
	v_add_f64 v[89:90], v[89:90], v[95:96]
	v_add_f64 v[83:84], v[83:84], v[85:86]
	v_fma_f64 v[85:86], v[58:59], s[18:19], -v[91:92]
	v_mul_f64 v[91:92], v[42:43], s[46:47]
	v_add_f64 v[85:86], v[85:86], v[97:98]
	v_fma_f64 v[95:96], v[56:57], s[4:5], -v[91:92]
	v_mul_f64 v[97:98], v[40:41], s[46:47]
	v_fma_f64 v[91:92], v[56:57], s[4:5], v[91:92]
	v_add_f64 v[95:96], v[95:96], v[103:104]
	v_fma_f64 v[99:100], v[58:59], s[4:5], v[97:98]
	v_add_f64 v[77:78], v[91:92], v[77:78]
	v_fma_f64 v[91:92], v[58:59], s[4:5], -v[97:98]
	v_add_f64 v[75:76], v[99:100], v[75:76]
	v_mul_f64 v[99:100], v[40:41], s[36:37]
	v_add_f64 v[79:80], v[91:92], v[79:80]
	v_mul_f64 v[91:92], v[42:43], s[36:37]
	v_fma_f64 v[103:104], v[58:59], s[0:1], v[99:100]
	v_fma_f64 v[99:100], v[58:59], s[0:1], -v[99:100]
	v_fma_f64 v[97:98], v[56:57], s[0:1], -v[91:92]
	v_fma_f64 v[91:92], v[56:57], s[0:1], v[91:92]
	v_add_f64 v[103:104], v[103:104], v[109:110]
	v_add_f64 v[99:100], v[99:100], v[107:108]
	v_add_f64 v[97:98], v[97:98], v[105:106]
	v_add_f64 v[91:92], v[91:92], v[101:102]
	v_mul_f64 v[101:102], v[42:43], s[38:39]
	v_mul_f64 v[42:43], v[42:43], s[30:31]
	;; [unrolled: 1-line block ×4, first 2 shown]
	v_fma_f64 v[105:106], v[56:57], s[16:17], -v[101:102]
	v_fma_f64 v[101:102], v[56:57], s[16:17], v[101:102]
	v_fma_f64 v[109:110], v[58:59], s[16:17], v[107:108]
	v_fma_f64 v[107:108], v[58:59], s[16:17], -v[107:108]
	v_add_f64 v[105:106], v[105:106], v[113:114]
	v_add_f64 v[101:102], v[101:102], v[111:112]
	v_fma_f64 v[111:112], v[56:57], s[22:23], -v[42:43]
	v_fma_f64 v[42:43], v[56:57], s[22:23], v[42:43]
	v_fma_f64 v[113:114], v[58:59], s[22:23], v[40:41]
	v_fma_f64 v[40:41], v[58:59], s[22:23], -v[40:41]
	v_add_f64 v[109:110], v[109:110], v[188:189]
	v_add_f64 v[107:108], v[107:108], v[115:116]
	v_add_f64 v[188:189], v[128:129], -v[140:141]
	v_add_f64 v[111:112], v[111:112], v[190:191]
	v_add_f64 v[42:43], v[42:43], v[50:51]
	v_add_f64 v[50:51], v[34:35], v[38:39]
	v_add_f64 v[34:35], v[34:35], -v[38:39]
	v_add_f64 v[40:41], v[40:41], v[48:49]
	v_add_f64 v[48:49], v[32:33], v[36:37]
	v_add_f64 v[32:33], v[32:33], -v[36:37]
	v_add_f64 v[113:114], v[113:114], v[192:193]
	v_mul_f64 v[36:37], v[34:35], s[38:39]
	v_mul_f64 v[58:59], v[32:33], s[40:41]
	v_fma_f64 v[38:39], v[48:49], s[16:17], -v[36:37]
	v_fma_f64 v[36:37], v[48:49], s[16:17], v[36:37]
	v_add_f64 v[38:39], v[38:39], v[46:47]
	v_mul_f64 v[46:47], v[32:33], s[38:39]
	v_add_f64 v[36:37], v[36:37], v[44:45]
	v_fma_f64 v[56:57], v[50:51], s[16:17], v[46:47]
	v_fma_f64 v[44:45], v[50:51], s[16:17], -v[46:47]
	v_mul_f64 v[46:47], v[34:35], s[40:41]
	v_add_f64 v[56:57], v[56:57], v[66:67]
	v_add_f64 v[44:45], v[44:45], v[52:53]
	v_fma_f64 v[52:53], v[48:49], s[24:25], -v[46:47]
	v_fma_f64 v[46:47], v[48:49], s[24:25], v[46:47]
	v_fma_f64 v[66:67], v[50:51], s[24:25], v[58:59]
	v_add_f64 v[52:53], v[52:53], v[68:69]
	v_add_f64 v[46:47], v[46:47], v[54:55]
	v_fma_f64 v[54:55], v[50:51], s[24:25], -v[58:59]
	v_mul_f64 v[58:59], v[34:35], s[52:53]
	v_add_f64 v[66:67], v[66:67], v[81:82]
	v_add_f64 v[54:55], v[54:55], v[70:71]
	v_fma_f64 v[68:69], v[48:49], s[18:19], -v[58:59]
	v_mul_f64 v[70:71], v[32:33], s[52:53]
	v_fma_f64 v[58:59], v[48:49], s[18:19], v[58:59]
	v_add_f64 v[68:69], v[68:69], v[87:88]
	v_fma_f64 v[81:82], v[50:51], s[18:19], v[70:71]
	v_add_f64 v[58:59], v[58:59], v[62:63]
	v_fma_f64 v[62:63], v[50:51], s[18:19], -v[70:71]
	v_add_f64 v[60:61], v[81:82], v[60:61]
	v_mul_f64 v[81:82], v[32:33], s[44:45]
	v_add_f64 v[62:63], v[62:63], v[64:65]
	v_mul_f64 v[64:65], v[34:35], s[44:45]
	v_fma_f64 v[87:88], v[50:51], s[0:1], v[81:82]
	v_fma_f64 v[81:82], v[50:51], s[0:1], -v[81:82]
	v_fma_f64 v[70:71], v[48:49], s[0:1], -v[64:65]
	v_fma_f64 v[64:65], v[48:49], s[0:1], v[64:65]
	v_add_f64 v[87:88], v[87:88], v[93:94]
	v_add_f64 v[81:82], v[81:82], v[85:86]
	;; [unrolled: 1-line block ×4, first 2 shown]
	v_mul_f64 v[83:84], v[34:35], s[48:49]
	v_mul_f64 v[89:90], v[32:33], s[48:49]
	v_fma_f64 v[85:86], v[48:49], s[12:13], -v[83:84]
	v_fma_f64 v[83:84], v[48:49], s[12:13], v[83:84]
	v_fma_f64 v[93:94], v[50:51], s[12:13], v[89:90]
	v_add_f64 v[85:86], v[85:86], v[95:96]
	v_add_f64 v[77:78], v[83:84], v[77:78]
	v_fma_f64 v[83:84], v[50:51], s[12:13], -v[89:90]
	v_add_f64 v[75:76], v[93:94], v[75:76]
	v_mul_f64 v[93:94], v[32:33], s[30:31]
	v_add_f64 v[79:80], v[83:84], v[79:80]
	v_mul_f64 v[83:84], v[34:35], s[30:31]
	v_fma_f64 v[95:96], v[50:51], s[22:23], v[93:94]
	v_fma_f64 v[89:90], v[48:49], s[22:23], -v[83:84]
	v_fma_f64 v[83:84], v[48:49], s[22:23], v[83:84]
	v_add_f64 v[95:96], v[95:96], v[103:104]
	v_add_f64 v[89:90], v[89:90], v[97:98]
	;; [unrolled: 1-line block ×3, first 2 shown]
	v_fma_f64 v[91:92], v[50:51], s[22:23], -v[93:94]
	v_mul_f64 v[93:94], v[34:35], s[56:57]
	v_mul_f64 v[34:35], v[34:35], s[46:47]
	v_add_f64 v[91:92], v[91:92], v[99:100]
	v_fma_f64 v[97:98], v[48:49], s[20:21], -v[93:94]
	v_fma_f64 v[93:94], v[48:49], s[20:21], v[93:94]
	v_mul_f64 v[99:100], v[32:33], s[56:57]
	v_mul_f64 v[32:33], v[32:33], s[46:47]
	v_add_f64 v[97:98], v[97:98], v[105:106]
	v_add_f64 v[93:94], v[93:94], v[101:102]
	v_fma_f64 v[101:102], v[48:49], s[4:5], -v[34:35]
	v_fma_f64 v[34:35], v[48:49], s[4:5], v[34:35]
	v_fma_f64 v[105:106], v[50:51], s[4:5], v[32:33]
	v_fma_f64 v[32:33], v[50:51], s[4:5], -v[32:33]
	v_fma_f64 v[103:104], v[50:51], s[20:21], v[99:100]
	v_fma_f64 v[99:100], v[50:51], s[20:21], -v[99:100]
	v_add_f64 v[101:102], v[101:102], v[111:112]
	v_add_f64 v[34:35], v[34:35], v[42:43]
	;; [unrolled: 1-line block ×3, first 2 shown]
	v_add_f64 v[26:27], v[26:27], -v[30:31]
	v_add_f64 v[32:33], v[32:33], v[40:41]
	v_add_f64 v[40:41], v[24:25], v[28:29]
	v_add_f64 v[24:25], v[24:25], -v[28:29]
	v_add_f64 v[105:106], v[105:106], v[113:114]
	v_add_f64 v[103:104], v[103:104], v[109:110]
	;; [unrolled: 1-line block ×3, first 2 shown]
	v_add_f64 v[113:114], v[126:127], -v[146:147]
	v_mul_f64 v[28:29], v[26:27], s[26:27]
	v_mul_f64 v[50:51], v[24:25], s[54:55]
	v_fma_f64 v[30:31], v[40:41], s[18:19], -v[28:29]
	v_fma_f64 v[28:29], v[40:41], s[18:19], v[28:29]
	v_add_f64 v[30:31], v[30:31], v[38:39]
	v_mul_f64 v[38:39], v[24:25], s[26:27]
	v_add_f64 v[28:29], v[28:29], v[36:37]
	v_fma_f64 v[48:49], v[42:43], s[18:19], v[38:39]
	v_fma_f64 v[36:37], v[42:43], s[18:19], -v[38:39]
	v_mul_f64 v[38:39], v[26:27], s[54:55]
	v_add_f64 v[48:49], v[48:49], v[56:57]
	v_add_f64 v[36:37], v[36:37], v[44:45]
	v_fma_f64 v[44:45], v[40:41], s[22:23], -v[38:39]
	v_fma_f64 v[38:39], v[40:41], s[22:23], v[38:39]
	v_mul_f64 v[56:57], v[24:25], s[46:47]
	v_add_f64 v[44:45], v[44:45], v[52:53]
	v_fma_f64 v[52:53], v[42:43], s[22:23], v[50:51]
	v_add_f64 v[38:39], v[38:39], v[46:47]
	v_fma_f64 v[46:47], v[42:43], s[22:23], -v[50:51]
	v_mul_f64 v[50:51], v[26:27], s[46:47]
	v_add_f64 v[52:53], v[52:53], v[66:67]
	v_fma_f64 v[66:67], v[42:43], s[4:5], v[56:57]
	v_add_f64 v[46:47], v[46:47], v[54:55]
	v_fma_f64 v[54:55], v[40:41], s[4:5], -v[50:51]
	v_fma_f64 v[50:51], v[40:41], s[4:5], v[50:51]
	v_fma_f64 v[56:57], v[42:43], s[4:5], -v[56:57]
	v_add_f64 v[60:61], v[66:67], v[60:61]
	v_mul_f64 v[66:67], v[24:25], s[48:49]
	v_add_f64 v[54:55], v[54:55], v[68:69]
	v_add_f64 v[50:51], v[50:51], v[58:59]
	v_mul_f64 v[58:59], v[26:27], s[48:49]
	v_add_f64 v[56:57], v[56:57], v[62:63]
	v_fma_f64 v[68:69], v[42:43], s[12:13], v[66:67]
	v_fma_f64 v[62:63], v[40:41], s[12:13], -v[58:59]
	v_fma_f64 v[58:59], v[40:41], s[12:13], v[58:59]
	v_add_f64 v[68:69], v[68:69], v[87:88]
	v_add_f64 v[62:63], v[62:63], v[70:71]
	;; [unrolled: 1-line block ×3, first 2 shown]
	v_fma_f64 v[64:65], v[42:43], s[12:13], -v[66:67]
	v_mul_f64 v[66:67], v[26:27], s[40:41]
	v_add_f64 v[64:65], v[64:65], v[81:82]
	v_fma_f64 v[70:71], v[40:41], s[24:25], -v[66:67]
	v_mul_f64 v[81:82], v[24:25], s[40:41]
	v_fma_f64 v[66:67], v[40:41], s[24:25], v[66:67]
	v_add_f64 v[70:71], v[70:71], v[85:86]
	v_fma_f64 v[85:86], v[42:43], s[24:25], v[81:82]
	v_add_f64 v[66:67], v[66:67], v[77:78]
	v_fma_f64 v[77:78], v[42:43], s[24:25], -v[81:82]
	v_add_f64 v[75:76], v[85:86], v[75:76]
	v_mul_f64 v[85:86], v[24:25], s[50:51]
	v_add_f64 v[77:78], v[77:78], v[79:80]
	v_mul_f64 v[79:80], v[26:27], s[50:51]
	v_fma_f64 v[87:88], v[42:43], s[16:17], v[85:86]
	v_fma_f64 v[81:82], v[40:41], s[16:17], -v[79:80]
	v_fma_f64 v[79:80], v[40:41], s[16:17], v[79:80]
	v_add_f64 v[87:88], v[87:88], v[95:96]
	v_add_f64 v[81:82], v[81:82], v[89:90]
	;; [unrolled: 1-line block ×3, first 2 shown]
	v_fma_f64 v[83:84], v[42:43], s[16:17], -v[85:86]
	v_mul_f64 v[85:86], v[26:27], s[36:37]
	v_mul_f64 v[26:27], v[26:27], s[28:29]
	v_add_f64 v[83:84], v[83:84], v[91:92]
	v_fma_f64 v[89:90], v[40:41], s[0:1], -v[85:86]
	v_fma_f64 v[85:86], v[40:41], s[0:1], v[85:86]
	v_mul_f64 v[91:92], v[24:25], s[36:37]
	v_mul_f64 v[24:25], v[24:25], s[28:29]
	v_add_f64 v[89:90], v[89:90], v[97:98]
	v_add_f64 v[85:86], v[85:86], v[93:94]
	v_fma_f64 v[93:94], v[40:41], s[20:21], -v[26:27]
	v_fma_f64 v[26:27], v[40:41], s[20:21], v[26:27]
	v_fma_f64 v[97:98], v[42:43], s[20:21], v[24:25]
	v_fma_f64 v[24:25], v[42:43], s[20:21], -v[24:25]
	v_fma_f64 v[95:96], v[42:43], s[0:1], v[91:92]
	v_fma_f64 v[91:92], v[42:43], s[0:1], -v[91:92]
	v_add_f64 v[93:94], v[93:94], v[101:102]
	v_add_f64 v[26:27], v[26:27], v[34:35]
	v_add_f64 v[34:35], v[18:19], v[22:23]
	v_add_f64 v[18:19], v[18:19], -v[22:23]
	v_add_f64 v[24:25], v[24:25], v[32:33]
	v_add_f64 v[32:33], v[16:17], v[20:21]
	v_add_f64 v[16:17], v[16:17], -v[20:21]
	v_add_f64 v[97:98], v[97:98], v[105:106]
	v_add_f64 v[95:96], v[95:96], v[103:104]
	;; [unrolled: 1-line block ×3, first 2 shown]
	v_mul_f64 v[20:21], v[18:19], s[28:29]
	v_mul_f64 v[42:43], v[16:17], s[52:53]
	v_fma_f64 v[22:23], v[32:33], s[20:21], -v[20:21]
	v_fma_f64 v[20:21], v[32:33], s[20:21], v[20:21]
	v_add_f64 v[22:23], v[22:23], v[30:31]
	v_mul_f64 v[30:31], v[16:17], s[28:29]
	v_add_f64 v[20:21], v[20:21], v[28:29]
	v_fma_f64 v[40:41], v[34:35], s[20:21], v[30:31]
	v_fma_f64 v[28:29], v[34:35], s[20:21], -v[30:31]
	v_mul_f64 v[30:31], v[18:19], s[52:53]
	v_add_f64 v[40:41], v[40:41], v[48:49]
	v_add_f64 v[28:29], v[28:29], v[36:37]
	v_fma_f64 v[36:37], v[32:33], s[18:19], -v[30:31]
	v_fma_f64 v[30:31], v[32:33], s[18:19], v[30:31]
	v_mul_f64 v[48:49], v[16:17], s[36:37]
	v_add_f64 v[36:37], v[36:37], v[44:45]
	v_fma_f64 v[44:45], v[34:35], s[18:19], v[42:43]
	v_add_f64 v[30:31], v[30:31], v[38:39]
	v_fma_f64 v[38:39], v[34:35], s[18:19], -v[42:43]
	v_mul_f64 v[42:43], v[18:19], s[36:37]
	v_add_f64 v[44:45], v[44:45], v[52:53]
	v_fma_f64 v[52:53], v[34:35], s[0:1], v[48:49]
	v_add_f64 v[38:39], v[38:39], v[46:47]
	v_fma_f64 v[46:47], v[32:33], s[0:1], -v[42:43]
	v_fma_f64 v[42:43], v[32:33], s[0:1], v[42:43]
	v_fma_f64 v[48:49], v[34:35], s[0:1], -v[48:49]
	v_add_f64 v[52:53], v[52:53], v[60:61]
	v_add_f64 v[46:47], v[46:47], v[54:55]
	;; [unrolled: 1-line block ×3, first 2 shown]
	v_mul_f64 v[50:51], v[18:19], s[30:31]
	v_add_f64 v[48:49], v[48:49], v[56:57]
	v_mul_f64 v[56:57], v[16:17], s[30:31]
	v_fma_f64 v[54:55], v[32:33], s[22:23], -v[50:51]
	v_fma_f64 v[50:51], v[32:33], s[22:23], v[50:51]
	v_fma_f64 v[60:61], v[34:35], s[22:23], v[56:57]
	v_fma_f64 v[56:57], v[34:35], s[22:23], -v[56:57]
	v_add_f64 v[54:55], v[54:55], v[62:63]
	v_add_f64 v[50:51], v[50:51], v[58:59]
	v_mul_f64 v[58:59], v[18:19], s[50:51]
	v_add_f64 v[56:57], v[56:57], v[64:65]
	v_mul_f64 v[64:65], v[16:17], s[50:51]
	v_add_f64 v[60:61], v[60:61], v[68:69]
	v_fma_f64 v[62:63], v[32:33], s[16:17], -v[58:59]
	v_fma_f64 v[58:59], v[32:33], s[16:17], v[58:59]
	v_fma_f64 v[68:69], v[34:35], s[16:17], v[64:65]
	v_fma_f64 v[64:65], v[34:35], s[16:17], -v[64:65]
	v_add_f64 v[62:63], v[62:63], v[70:71]
	v_add_f64 v[58:59], v[58:59], v[66:67]
	v_mul_f64 v[66:67], v[18:19], s[42:43]
	v_add_f64 v[68:69], v[68:69], v[75:76]
	v_mul_f64 v[75:76], v[16:17], s[42:43]
	v_add_f64 v[64:65], v[64:65], v[77:78]
	v_fma_f64 v[70:71], v[32:33], s[4:5], -v[66:67]
	v_fma_f64 v[66:67], v[32:33], s[4:5], v[66:67]
	v_fma_f64 v[77:78], v[34:35], s[4:5], v[75:76]
	v_fma_f64 v[75:76], v[34:35], s[4:5], -v[75:76]
	v_add_f64 v[70:71], v[70:71], v[81:82]
	v_add_f64 v[66:67], v[66:67], v[79:80]
	v_mul_f64 v[79:80], v[18:19], s[40:41]
	v_mul_f64 v[18:19], v[18:19], s[34:35]
	v_add_f64 v[75:76], v[75:76], v[83:84]
	v_mul_f64 v[83:84], v[16:17], s[40:41]
	v_mul_f64 v[16:17], v[16:17], s[34:35]
	v_add_f64 v[77:78], v[77:78], v[87:88]
	v_fma_f64 v[81:82], v[32:33], s[24:25], -v[79:80]
	v_fma_f64 v[79:80], v[32:33], s[24:25], v[79:80]
	v_fma_f64 v[87:88], v[34:35], s[24:25], v[83:84]
	v_fma_f64 v[83:84], v[34:35], s[24:25], -v[83:84]
	v_add_f64 v[81:82], v[81:82], v[89:90]
	v_add_f64 v[79:80], v[79:80], v[85:86]
	v_fma_f64 v[85:86], v[32:33], s[12:13], -v[18:19]
	v_fma_f64 v[18:19], v[32:33], s[12:13], v[18:19]
	v_fma_f64 v[89:90], v[34:35], s[12:13], v[16:17]
	v_fma_f64 v[16:17], v[34:35], s[12:13], -v[16:17]
	v_add_f64 v[87:88], v[87:88], v[95:96]
	v_add_f64 v[83:84], v[83:84], v[91:92]
	;; [unrolled: 1-line block ×5, first 2 shown]
	v_add_f64 v[10:11], v[10:11], -v[14:15]
	v_add_f64 v[16:17], v[16:17], v[24:25]
	v_add_f64 v[24:25], v[8:9], v[12:13]
	v_add_f64 v[8:9], v[8:9], -v[12:13]
	v_add_f64 v[89:90], v[89:90], v[97:98]
	v_mul_f64 v[12:13], v[10:11], s[30:31]
	v_mul_f64 v[34:35], v[8:9], s[34:35]
	v_fma_f64 v[14:15], v[24:25], s[22:23], -v[12:13]
	v_fma_f64 v[12:13], v[24:25], s[22:23], v[12:13]
	v_add_f64 v[14:15], v[14:15], v[22:23]
	v_mul_f64 v[22:23], v[8:9], s[30:31]
	v_add_f64 v[12:13], v[12:13], v[20:21]
	v_fma_f64 v[32:33], v[26:27], s[22:23], v[22:23]
	v_fma_f64 v[20:21], v[26:27], s[22:23], -v[22:23]
	v_mul_f64 v[22:23], v[10:11], s[34:35]
	v_add_f64 v[32:33], v[32:33], v[40:41]
	v_add_f64 v[20:21], v[20:21], v[28:29]
	v_fma_f64 v[28:29], v[24:25], s[12:13], -v[22:23]
	v_fma_f64 v[22:23], v[24:25], s[12:13], v[22:23]
	v_mul_f64 v[40:41], v[8:9], s[38:39]
	v_add_f64 v[28:29], v[28:29], v[36:37]
	v_fma_f64 v[36:37], v[26:27], s[12:13], v[34:35]
	v_add_f64 v[22:23], v[22:23], v[30:31]
	v_fma_f64 v[30:31], v[26:27], s[12:13], -v[34:35]
	v_mul_f64 v[34:35], v[10:11], s[38:39]
	v_add_f64 v[36:37], v[36:37], v[44:45]
	v_fma_f64 v[44:45], v[26:27], s[16:17], v[40:41]
	v_add_f64 v[30:31], v[30:31], v[38:39]
	v_fma_f64 v[38:39], v[24:25], s[16:17], -v[34:35]
	v_fma_f64 v[34:35], v[24:25], s[16:17], v[34:35]
	v_fma_f64 v[40:41], v[26:27], s[16:17], -v[40:41]
	v_add_f64 v[44:45], v[44:45], v[52:53]
	v_add_f64 v[38:39], v[38:39], v[46:47]
	;; [unrolled: 1-line block ×3, first 2 shown]
	v_mul_f64 v[42:43], v[10:11], s[56:57]
	v_add_f64 v[40:41], v[40:41], v[48:49]
	v_mul_f64 v[48:49], v[8:9], s[56:57]
	v_fma_f64 v[46:47], v[24:25], s[20:21], -v[42:43]
	v_fma_f64 v[42:43], v[24:25], s[20:21], v[42:43]
	v_fma_f64 v[52:53], v[26:27], s[20:21], v[48:49]
	v_fma_f64 v[48:49], v[26:27], s[20:21], -v[48:49]
	v_add_f64 v[46:47], v[46:47], v[54:55]
	v_add_f64 v[42:43], v[42:43], v[50:51]
	v_mul_f64 v[50:51], v[10:11], s[36:37]
	v_add_f64 v[48:49], v[48:49], v[56:57]
	v_mul_f64 v[56:57], v[8:9], s[36:37]
	v_add_f64 v[52:53], v[52:53], v[60:61]
	v_fma_f64 v[54:55], v[24:25], s[0:1], -v[50:51]
	v_fma_f64 v[50:51], v[24:25], s[0:1], v[50:51]
	v_fma_f64 v[60:61], v[26:27], s[0:1], v[56:57]
	v_fma_f64 v[56:57], v[26:27], s[0:1], -v[56:57]
	v_add_f64 v[54:55], v[54:55], v[62:63]
	v_add_f64 v[50:51], v[50:51], v[58:59]
	v_mul_f64 v[58:59], v[10:11], s[40:41]
	v_add_f64 v[56:57], v[56:57], v[64:65]
	v_mul_f64 v[64:65], v[8:9], s[40:41]
	v_add_f64 v[60:61], v[60:61], v[68:69]
	v_fma_f64 v[62:63], v[24:25], s[24:25], -v[58:59]
	v_fma_f64 v[58:59], v[24:25], s[24:25], v[58:59]
	v_fma_f64 v[68:69], v[26:27], s[24:25], v[64:65]
	v_fma_f64 v[64:65], v[26:27], s[24:25], -v[64:65]
	v_add_f64 v[62:63], v[62:63], v[70:71]
	v_add_f64 v[58:59], v[58:59], v[66:67]
	v_mul_f64 v[66:67], v[10:11], s[46:47]
	v_add_f64 v[64:65], v[64:65], v[75:76]
	v_mul_f64 v[75:76], v[8:9], s[46:47]
	v_mul_f64 v[8:9], v[8:9], s[26:27]
	v_add_f64 v[68:69], v[68:69], v[77:78]
	v_mul_f64 v[10:11], v[10:11], s[26:27]
	v_fma_f64 v[70:71], v[24:25], s[4:5], -v[66:67]
	v_fma_f64 v[66:67], v[24:25], s[4:5], v[66:67]
	v_fma_f64 v[77:78], v[26:27], s[4:5], v[75:76]
	v_fma_f64 v[75:76], v[26:27], s[4:5], -v[75:76]
	v_add_f64 v[70:71], v[70:71], v[81:82]
	v_fma_f64 v[81:82], v[26:27], s[18:19], v[8:9]
	v_add_f64 v[77:78], v[77:78], v[87:88]
	v_add_f64 v[66:67], v[66:67], v[79:80]
	;; [unrolled: 1-line block ×3, first 2 shown]
	v_fma_f64 v[79:80], v[24:25], s[18:19], -v[10:11]
	v_add_f64 v[83:84], v[0:1], v[4:5]
	v_add_f64 v[87:88], v[0:1], -v[4:5]
	v_fma_f64 v[8:9], v[26:27], s[18:19], -v[8:9]
	v_add_f64 v[81:82], v[81:82], v[89:90]
	v_add_f64 v[89:90], v[2:3], -v[6:7]
	v_fma_f64 v[10:11], v[24:25], s[18:19], v[10:11]
	v_add_f64 v[79:80], v[79:80], v[85:86]
	v_add_f64 v[85:86], v[2:3], v[6:7]
	;; [unrolled: 1-line block ×3, first 2 shown]
	v_mul_f64 v[0:1], v[89:90], s[40:41]
	v_mul_f64 v[8:9], v[89:90], s[44:45]
	v_add_f64 v[24:25], v[10:11], v[18:19]
	v_fma_f64 v[2:3], v[83:84], s[24:25], -v[0:1]
	v_fma_f64 v[10:11], v[83:84], s[0:1], -v[8:9]
	v_fma_f64 v[8:9], v[83:84], s[0:1], v[8:9]
	v_fma_f64 v[0:1], v[83:84], s[24:25], v[0:1]
	v_add_f64 v[4:5], v[2:3], v[14:15]
	v_mul_f64 v[2:3], v[87:88], s[40:41]
	v_add_f64 v[8:9], v[8:9], v[22:23]
	v_add_f64 v[192:193], v[10:11], v[28:29]
	;; [unrolled: 1-line block ×3, first 2 shown]
	v_mul_f64 v[10:11], v[87:88], s[44:45]
	v_fma_f64 v[6:7], v[85:86], s[24:25], v[2:3]
	v_fma_f64 v[2:3], v[85:86], s[24:25], -v[2:3]
	v_fma_f64 v[12:13], v[85:86], s[0:1], v[10:11]
	v_fma_f64 v[10:11], v[85:86], s[0:1], -v[10:11]
	v_add_f64 v[6:7], v[6:7], v[32:33]
	v_add_f64 v[2:3], v[2:3], v[20:21]
	v_mul_f64 v[20:21], v[89:90], s[26:27]
	buffer_store_dword v4, off, s[60:63], 0 offset:536 ; 4-byte Folded Spill
	s_nop 0
	buffer_store_dword v5, off, s[60:63], 0 offset:540 ; 4-byte Folded Spill
	buffer_store_dword v6, off, s[60:63], 0 offset:544 ; 4-byte Folded Spill
	;; [unrolled: 1-line block ×4, first 2 shown]
	s_nop 0
	buffer_store_dword v1, off, s[60:63], 0 offset:524 ; 4-byte Folded Spill
	buffer_store_dword v2, off, s[60:63], 0 offset:528 ; 4-byte Folded Spill
	;; [unrolled: 1-line block ×3, first 2 shown]
	v_fma_f64 v[22:23], v[83:84], s[18:19], -v[20:21]
	v_fma_f64 v[20:21], v[83:84], s[18:19], v[20:21]
	v_add_f64 v[10:11], v[10:11], v[30:31]
	v_add_f64 v[194:195], v[12:13], v[36:37]
	v_mul_f64 v[12:13], v[89:90], s[30:31]
	v_add_f64 v[224:225], v[22:23], v[70:71]
	v_mul_f64 v[22:23], v[87:88], s[26:27]
	v_add_f64 v[220:221], v[20:21], v[66:67]
	v_fma_f64 v[14:15], v[83:84], s[22:23], -v[12:13]
	v_fma_f64 v[12:13], v[83:84], s[22:23], v[12:13]
	v_fma_f64 v[20:21], v[85:86], s[18:19], -v[22:23]
	v_fma_f64 v[28:29], v[85:86], s[18:19], v[22:23]
	v_add_f64 v[200:201], v[14:15], v[38:39]
	v_add_f64 v[196:197], v[12:13], v[34:35]
	v_mul_f64 v[14:15], v[87:88], s[30:31]
	v_add_f64 v[222:223], v[20:21], v[75:76]
	v_mul_f64 v[20:21], v[89:90], s[50:51]
	v_add_f64 v[226:227], v[28:29], v[77:78]
	v_fma_f64 v[12:13], v[85:86], s[22:23], -v[14:15]
	v_fma_f64 v[16:17], v[85:86], s[22:23], v[14:15]
	v_fma_f64 v[22:23], v[83:84], s[16:17], -v[20:21]
	v_fma_f64 v[20:21], v[83:84], s[16:17], v[20:21]
	v_add_f64 v[198:199], v[12:13], v[40:41]
	v_mul_f64 v[12:13], v[89:90], s[46:47]
	v_add_f64 v[202:203], v[16:17], v[44:45]
	v_add_f64 v[232:233], v[22:23], v[79:80]
	v_mul_f64 v[22:23], v[87:88], s[50:51]
	v_add_f64 v[228:229], v[20:21], v[24:25]
	v_fma_f64 v[14:15], v[83:84], s[4:5], -v[12:13]
	v_fma_f64 v[12:13], v[83:84], s[4:5], v[12:13]
	v_fma_f64 v[28:29], v[85:86], s[16:17], v[22:23]
	v_fma_f64 v[20:21], v[85:86], s[16:17], -v[22:23]
	v_add_f64 v[22:23], v[170:171], -v[166:167]
	v_add_f64 v[208:209], v[14:15], v[46:47]
	v_mul_f64 v[14:15], v[87:88], s[46:47]
	v_add_f64 v[204:205], v[12:13], v[42:43]
	v_add_f64 v[234:235], v[28:29], v[81:82]
	;; [unrolled: 1-line block ×3, first 2 shown]
	v_add_f64 v[20:21], v[168:169], -v[164:165]
	v_mul_f64 v[0:1], v[22:23], s[36:37]
	buffer_store_dword v0, off, s[60:63], 0 offset:568 ; 4-byte Folded Spill
	s_nop 0
	buffer_store_dword v1, off, s[60:63], 0 offset:572 ; 4-byte Folded Spill
	v_mul_f64 v[2:3], v[20:21], s[36:37]
	buffer_store_dword v2, off, s[60:63], 0 offset:584 ; 4-byte Folded Spill
	s_nop 0
	buffer_store_dword v3, off, s[60:63], 0 offset:588 ; 4-byte Folded Spill
	v_add_f64 v[26:27], v[168:169], v[164:165]
	v_add_f64 v[28:29], v[170:171], v[166:167]
	v_fma_f64 v[12:13], v[85:86], s[4:5], -v[14:15]
	v_fma_f64 v[16:17], v[85:86], s[4:5], v[14:15]
	v_add_f64 v[206:207], v[12:13], v[48:49]
	v_mul_f64 v[12:13], v[89:90], s[28:29]
	v_add_f64 v[210:211], v[16:17], v[52:53]
	v_fma_f64 v[14:15], v[83:84], s[20:21], -v[12:13]
	v_fma_f64 v[12:13], v[83:84], s[20:21], v[12:13]
	v_add_f64 v[216:217], v[14:15], v[54:55]
	v_mul_f64 v[14:15], v[87:88], s[28:29]
	;; [unrolled: 5-line block ×3, first 2 shown]
	v_add_f64 v[218:219], v[16:17], v[60:61]
	v_fma_f64 v[14:15], v[83:84], s[12:13], -v[12:13]
	v_fma_f64 v[12:13], v[83:84], s[12:13], v[12:13]
	v_add_f64 v[83:84], v[172:173], -v[160:161]
	v_add_f64 v[16:17], v[14:15], v[62:63]
	v_mul_f64 v[14:15], v[87:88], s[34:35]
	v_add_f64 v[12:13], v[12:13], v[58:59]
	v_fma_f64 v[24:25], v[26:27], s[0:1], v[0:1]
	v_mul_f64 v[0:1], v[22:23], s[42:43]
	buffer_store_dword v0, off, s[60:63], 0 offset:600 ; 4-byte Folded Spill
	s_nop 0
	buffer_store_dword v1, off, s[60:63], 0 offset:604 ; 4-byte Folded Spill
	v_fma_f64 v[30:31], v[28:29], s[0:1], -v[2:3]
	v_mul_f64 v[2:3], v[20:21], s[42:43]
	buffer_store_dword v2, off, s[60:63], 0 offset:616 ; 4-byte Folded Spill
	s_nop 0
	buffer_store_dword v3, off, s[60:63], 0 offset:620 ; 4-byte Folded Spill
	v_fma_f64 v[18:19], v[85:86], s[12:13], v[14:15]
	v_fma_f64 v[14:15], v[85:86], s[12:13], -v[14:15]
	v_add_f64 v[85:86], v[174:175], -v[162:163]
	v_add_f64 v[24:25], v[120:121], v[24:25]
	v_add_f64 v[30:31], v[122:123], v[30:31]
	;; [unrolled: 1-line block ×4, first 2 shown]
	v_fma_f64 v[32:33], v[26:27], s[4:5], v[0:1]
	v_mul_f64 v[0:1], v[22:23], s[48:49]
	buffer_store_dword v0, off, s[60:63], 0 offset:632 ; 4-byte Folded Spill
	s_nop 0
	buffer_store_dword v1, off, s[60:63], 0 offset:636 ; 4-byte Folded Spill
	v_fma_f64 v[34:35], v[28:29], s[4:5], -v[2:3]
	v_mul_f64 v[2:3], v[20:21], s[48:49]
	buffer_store_dword v2, off, s[60:63], 0 offset:648 ; 4-byte Folded Spill
	s_nop 0
	buffer_store_dword v3, off, s[60:63], 0 offset:652 ; 4-byte Folded Spill
	v_add_f64 v[32:33], v[120:121], v[32:33]
	v_add_f64 v[34:35], v[122:123], v[34:35]
	v_fma_f64 v[36:37], v[26:27], s[12:13], v[0:1]
	v_mul_f64 v[0:1], v[85:86], s[42:43]
	buffer_store_dword v0, off, s[60:63], 0 offset:664 ; 4-byte Folded Spill
	s_nop 0
	buffer_store_dword v1, off, s[60:63], 0 offset:668 ; 4-byte Folded Spill
	v_add_f64 v[40:41], v[120:121], v[36:37]
	v_fma_f64 v[36:37], v[28:29], s[12:13], -v[2:3]
	v_mul_f64 v[2:3], v[83:84], s[42:43]
	buffer_store_dword v2, off, s[60:63], 0 offset:680 ; 4-byte Folded Spill
	s_nop 0
	buffer_store_dword v3, off, s[60:63], 0 offset:684 ; 4-byte Folded Spill
	v_add_f64 v[42:43], v[122:123], v[36:37]
	v_mul_f64 v[36:37], v[22:23], s[38:39]
	v_fma_f64 v[38:39], v[26:27], s[16:17], -v[36:37]
	v_fma_f64 v[36:37], v[26:27], s[16:17], v[36:37]
	v_add_f64 v[44:45], v[120:121], v[38:39]
	v_mul_f64 v[38:39], v[20:21], s[38:39]
	v_add_f64 v[48:49], v[120:121], v[36:37]
	v_fma_f64 v[36:37], v[28:29], s[16:17], -v[38:39]
	v_fma_f64 v[46:47], v[28:29], s[16:17], v[38:39]
	v_add_f64 v[50:51], v[122:123], v[36:37]
	v_mul_f64 v[36:37], v[22:23], s[26:27]
	v_add_f64 v[46:47], v[122:123], v[46:47]
	;; [unrolled: 5-line block ×5, first 2 shown]
	v_fma_f64 v[36:37], v[28:29], s[20:21], -v[38:39]
	v_fma_f64 v[62:63], v[28:29], s[20:21], v[38:39]
	v_add_f64 v[66:67], v[122:123], v[36:37]
	v_mul_f64 v[36:37], v[22:23], s[30:31]
	v_mul_f64 v[22:23], v[22:23], s[40:41]
	v_add_f64 v[62:63], v[122:123], v[62:63]
	v_fma_f64 v[38:39], v[26:27], s[22:23], -v[36:37]
	v_fma_f64 v[36:37], v[26:27], s[22:23], v[36:37]
	v_add_f64 v[68:69], v[120:121], v[38:39]
	v_mul_f64 v[38:39], v[20:21], s[30:31]
	v_add_f64 v[75:76], v[120:121], v[36:37]
	v_mul_f64 v[20:21], v[20:21], s[40:41]
	v_fma_f64 v[36:37], v[28:29], s[22:23], -v[38:39]
	v_fma_f64 v[70:71], v[28:29], s[22:23], v[38:39]
	v_add_f64 v[38:39], v[174:175], v[162:163]
	v_add_f64 v[77:78], v[122:123], v[36:37]
	v_fma_f64 v[36:37], v[26:27], s[24:25], -v[22:23]
	v_fma_f64 v[22:23], v[26:27], s[24:25], v[22:23]
	v_add_f64 v[70:71], v[122:123], v[70:71]
	v_add_f64 v[79:80], v[120:121], v[36:37]
	v_fma_f64 v[36:37], v[28:29], s[24:25], v[20:21]
	v_add_f64 v[22:23], v[120:121], v[22:23]
	v_fma_f64 v[20:21], v[28:29], s[24:25], -v[20:21]
	v_add_f64 v[81:82], v[122:123], v[36:37]
	v_add_f64 v[36:37], v[172:173], v[160:161]
	;; [unrolled: 1-line block ×3, first 2 shown]
	v_fma_f64 v[87:88], v[36:37], s[4:5], v[0:1]
	v_mul_f64 v[0:1], v[85:86], s[38:39]
	buffer_store_dword v0, off, s[60:63], 0 offset:696 ; 4-byte Folded Spill
	s_nop 0
	buffer_store_dword v1, off, s[60:63], 0 offset:700 ; 4-byte Folded Spill
	v_add_f64 v[24:25], v[87:88], v[24:25]
	v_fma_f64 v[87:88], v[38:39], s[4:5], -v[2:3]
	v_mul_f64 v[2:3], v[83:84], s[38:39]
	buffer_store_dword v2, off, s[60:63], 0 offset:712 ; 4-byte Folded Spill
	s_nop 0
	buffer_store_dword v3, off, s[60:63], 0 offset:716 ; 4-byte Folded Spill
	v_add_f64 v[30:31], v[87:88], v[30:31]
	v_fma_f64 v[87:88], v[36:37], s[16:17], v[0:1]
	v_mul_f64 v[0:1], v[85:86], s[28:29]
	buffer_store_dword v0, off, s[60:63], 0 offset:728 ; 4-byte Folded Spill
	s_nop 0
	buffer_store_dword v1, off, s[60:63], 0 offset:732 ; 4-byte Folded Spill
	v_add_f64 v[32:33], v[87:88], v[32:33]
	v_fma_f64 v[87:88], v[38:39], s[16:17], -v[2:3]
	v_mul_f64 v[2:3], v[83:84], s[28:29]
	buffer_store_dword v2, off, s[60:63], 0 offset:744 ; 4-byte Folded Spill
	s_nop 0
	buffer_store_dword v3, off, s[60:63], 0 offset:748 ; 4-byte Folded Spill
	v_add_f64 v[34:35], v[87:88], v[34:35]
	v_fma_f64 v[87:88], v[36:37], s[20:21], v[0:1]
	v_add_f64 v[40:41], v[87:88], v[40:41]
	v_fma_f64 v[87:88], v[38:39], s[20:21], -v[2:3]
	v_add_f64 v[42:43], v[87:88], v[42:43]
	v_mul_f64 v[87:88], v[85:86], s[40:41]
	v_fma_f64 v[89:90], v[36:37], s[24:25], -v[87:88]
	v_fma_f64 v[87:88], v[36:37], s[24:25], v[87:88]
	v_add_f64 v[44:45], v[89:90], v[44:45]
	v_mul_f64 v[89:90], v[83:84], s[40:41]
	v_add_f64 v[48:49], v[87:88], v[48:49]
	v_fma_f64 v[87:88], v[38:39], s[24:25], -v[89:90]
	v_fma_f64 v[91:92], v[38:39], s[24:25], v[89:90]
	v_add_f64 v[50:51], v[87:88], v[50:51]
	v_mul_f64 v[87:88], v[85:86], s[54:55]
	v_add_f64 v[46:47], v[91:92], v[46:47]
	v_fma_f64 v[89:90], v[36:37], s[22:23], -v[87:88]
	v_add_f64 v[89:90], v[89:90], v[52:53]
	v_mul_f64 v[52:53], v[83:84], s[54:55]
	v_fma_f64 v[91:92], v[38:39], s[22:23], v[52:53]
	v_fma_f64 v[52:53], v[38:39], s[22:23], -v[52:53]
	v_add_f64 v[91:92], v[91:92], v[54:55]
	v_fma_f64 v[54:55], v[36:37], s[22:23], v[87:88]
	v_add_f64 v[58:59], v[52:53], v[58:59]
	v_mul_f64 v[52:53], v[85:86], s[52:53]
	v_add_f64 v[56:57], v[54:55], v[56:57]
	v_fma_f64 v[54:55], v[36:37], s[18:19], -v[52:53]
	v_fma_f64 v[52:53], v[36:37], s[18:19], v[52:53]
	v_add_f64 v[60:61], v[54:55], v[60:61]
	v_mul_f64 v[54:55], v[83:84], s[52:53]
	v_add_f64 v[64:65], v[52:53], v[64:65]
	v_fma_f64 v[52:53], v[38:39], s[18:19], -v[54:55]
	;; [unrolled: 5-line block ×4, first 2 shown]
	v_fma_f64 v[87:88], v[38:39], s[12:13], v[54:55]
	v_add_f64 v[77:78], v[52:53], v[77:78]
	v_mul_f64 v[52:53], v[85:86], s[44:45]
	v_add_f64 v[85:86], v[182:183], -v[158:159]
	v_add_f64 v[70:71], v[87:88], v[70:71]
	v_fma_f64 v[54:55], v[36:37], s[0:1], -v[52:53]
	v_mul_f64 v[0:1], v[85:86], s[48:49]
	buffer_store_dword v0, off, s[60:63], 0 offset:760 ; 4-byte Folded Spill
	s_nop 0
	buffer_store_dword v1, off, s[60:63], 0 offset:764 ; 4-byte Folded Spill
	v_add_f64 v[79:80], v[54:55], v[79:80]
	v_mul_f64 v[54:55], v[83:84], s[44:45]
	v_fma_f64 v[52:53], v[36:37], s[0:1], v[52:53]
	v_fma_f64 v[83:84], v[38:39], s[0:1], v[54:55]
	v_add_f64 v[22:23], v[52:53], v[22:23]
	v_fma_f64 v[52:53], v[38:39], s[0:1], -v[54:55]
	v_add_f64 v[54:55], v[182:183], v[158:159]
	v_add_f64 v[81:82], v[83:84], v[81:82]
	v_add_f64 v[83:84], v[180:181], -v[156:157]
	v_add_f64 v[20:21], v[52:53], v[20:21]
	v_add_f64 v[52:53], v[180:181], v[156:157]
	v_mul_f64 v[2:3], v[83:84], s[48:49]
	buffer_store_dword v2, off, s[60:63], 0 offset:776 ; 4-byte Folded Spill
	s_nop 0
	buffer_store_dword v3, off, s[60:63], 0 offset:780 ; 4-byte Folded Spill
	v_fma_f64 v[87:88], v[52:53], s[12:13], v[0:1]
	v_mul_f64 v[0:1], v[85:86], s[28:29]
	buffer_store_dword v0, off, s[60:63], 0 offset:792 ; 4-byte Folded Spill
	s_nop 0
	buffer_store_dword v1, off, s[60:63], 0 offset:796 ; 4-byte Folded Spill
	v_add_f64 v[24:25], v[87:88], v[24:25]
	v_fma_f64 v[87:88], v[54:55], s[12:13], -v[2:3]
	v_mul_f64 v[2:3], v[83:84], s[28:29]
	buffer_store_dword v2, off, s[60:63], 0 offset:808 ; 4-byte Folded Spill
	s_nop 0
	buffer_store_dword v3, off, s[60:63], 0 offset:812 ; 4-byte Folded Spill
	v_add_f64 v[30:31], v[87:88], v[30:31]
	v_fma_f64 v[87:88], v[52:53], s[20:21], v[0:1]
	v_mul_f64 v[0:1], v[85:86], s[58:59]
	buffer_store_dword v0, off, s[60:63], 0 offset:816 ; 4-byte Folded Spill
	s_nop 0
	buffer_store_dword v1, off, s[60:63], 0 offset:820 ; 4-byte Folded Spill
	v_add_f64 v[32:33], v[87:88], v[32:33]
	v_fma_f64 v[87:88], v[54:55], s[20:21], -v[2:3]
	v_mul_f64 v[2:3], v[83:84], s[58:59]
	buffer_store_dword v2, off, s[60:63], 0 offset:824 ; 4-byte Folded Spill
	s_nop 0
	buffer_store_dword v3, off, s[60:63], 0 offset:828 ; 4-byte Folded Spill
	v_add_f64 v[34:35], v[87:88], v[34:35]
	v_fma_f64 v[87:88], v[52:53], s[24:25], v[0:1]
	v_add_f64 v[40:41], v[87:88], v[40:41]
	v_fma_f64 v[87:88], v[54:55], s[24:25], -v[2:3]
	v_add_f64 v[42:43], v[87:88], v[42:43]
	v_mul_f64 v[87:88], v[85:86], s[52:53]
	v_fma_f64 v[93:94], v[52:53], s[18:19], -v[87:88]
	v_fma_f64 v[87:88], v[52:53], s[18:19], v[87:88]
	v_add_f64 v[44:45], v[93:94], v[44:45]
	v_mul_f64 v[93:94], v[83:84], s[52:53]
	v_add_f64 v[48:49], v[87:88], v[48:49]
	v_fma_f64 v[87:88], v[54:55], s[18:19], -v[93:94]
	v_fma_f64 v[95:96], v[54:55], s[18:19], v[93:94]
	v_add_f64 v[50:51], v[87:88], v[50:51]
	v_mul_f64 v[87:88], v[85:86], s[46:47]
	v_add_f64 v[46:47], v[95:96], v[46:47]
	;; [unrolled: 5-line block ×6, first 2 shown]
	v_fma_f64 v[93:94], v[52:53], s[16:17], -v[87:88]
	v_add_f64 v[93:94], v[93:94], v[68:69]
	v_mul_f64 v[68:69], v[83:84], s[38:39]
	v_fma_f64 v[95:96], v[54:55], s[16:17], v[68:69]
	v_fma_f64 v[68:69], v[54:55], s[16:17], -v[68:69]
	v_add_f64 v[95:96], v[95:96], v[70:71]
	v_fma_f64 v[70:71], v[52:53], s[16:17], v[87:88]
	v_add_f64 v[77:78], v[68:69], v[77:78]
	v_mul_f64 v[68:69], v[85:86], s[30:31]
	v_add_f64 v[85:86], v[186:187], -v[154:155]
	v_add_f64 v[75:76], v[70:71], v[75:76]
	v_fma_f64 v[70:71], v[52:53], s[22:23], -v[68:69]
	v_mul_f64 v[0:1], v[85:86], s[38:39]
	buffer_store_dword v0, off, s[60:63], 0 offset:840 ; 4-byte Folded Spill
	s_nop 0
	buffer_store_dword v1, off, s[60:63], 0 offset:844 ; 4-byte Folded Spill
	v_add_f64 v[79:80], v[70:71], v[79:80]
	v_mul_f64 v[70:71], v[83:84], s[30:31]
	v_fma_f64 v[68:69], v[52:53], s[22:23], v[68:69]
	v_fma_f64 v[83:84], v[54:55], s[22:23], v[70:71]
	v_add_f64 v[22:23], v[68:69], v[22:23]
	v_fma_f64 v[68:69], v[54:55], s[22:23], -v[70:71]
	v_add_f64 v[70:71], v[186:187], v[154:155]
	v_add_f64 v[81:82], v[83:84], v[81:82]
	v_add_f64 v[83:84], v[184:185], -v[152:153]
	v_add_f64 v[20:21], v[68:69], v[20:21]
	v_add_f64 v[68:69], v[184:185], v[152:153]
	v_mul_f64 v[2:3], v[83:84], s[38:39]
	buffer_store_dword v2, off, s[60:63], 0 offset:848 ; 4-byte Folded Spill
	s_nop 0
	buffer_store_dword v3, off, s[60:63], 0 offset:852 ; 4-byte Folded Spill
	v_fma_f64 v[87:88], v[68:69], s[16:17], v[0:1]
	v_mul_f64 v[0:1], v[85:86], s[40:41]
	buffer_store_dword v0, off, s[60:63], 0 offset:856 ; 4-byte Folded Spill
	s_nop 0
	buffer_store_dword v1, off, s[60:63], 0 offset:860 ; 4-byte Folded Spill
	v_add_f64 v[24:25], v[87:88], v[24:25]
	v_fma_f64 v[87:88], v[70:71], s[16:17], -v[2:3]
	v_mul_f64 v[2:3], v[83:84], s[40:41]
	buffer_store_dword v2, off, s[60:63], 0 offset:888 ; 4-byte Folded Spill
	s_nop 0
	buffer_store_dword v3, off, s[60:63], 0 offset:892 ; 4-byte Folded Spill
	v_add_f64 v[30:31], v[87:88], v[30:31]
	v_fma_f64 v[87:88], v[68:69], s[24:25], v[0:1]
	v_mul_f64 v[0:1], v[85:86], s[52:53]
	buffer_store_dword v0, off, s[60:63], 0 offset:872 ; 4-byte Folded Spill
	s_nop 0
	buffer_store_dword v1, off, s[60:63], 0 offset:876 ; 4-byte Folded Spill
	v_add_f64 v[32:33], v[87:88], v[32:33]
	v_fma_f64 v[87:88], v[70:71], s[24:25], -v[2:3]
	v_mul_f64 v[2:3], v[83:84], s[52:53]
	buffer_store_dword v2, off, s[60:63], 0 offset:976 ; 4-byte Folded Spill
	s_nop 0
	buffer_store_dword v3, off, s[60:63], 0 offset:980 ; 4-byte Folded Spill
	v_add_f64 v[34:35], v[87:88], v[34:35]
	v_fma_f64 v[87:88], v[68:69], s[18:19], v[0:1]
	v_add_f64 v[40:41], v[87:88], v[40:41]
	v_fma_f64 v[87:88], v[70:71], s[18:19], -v[2:3]
	v_add_f64 v[42:43], v[87:88], v[42:43]
	v_mul_f64 v[87:88], v[85:86], s[44:45]
	v_fma_f64 v[97:98], v[68:69], s[0:1], -v[87:88]
	v_fma_f64 v[87:88], v[68:69], s[0:1], v[87:88]
	v_add_f64 v[44:45], v[97:98], v[44:45]
	v_mul_f64 v[97:98], v[83:84], s[44:45]
	v_add_f64 v[48:49], v[87:88], v[48:49]
	v_fma_f64 v[87:88], v[70:71], s[0:1], -v[97:98]
	v_fma_f64 v[99:100], v[70:71], s[0:1], v[97:98]
	v_add_f64 v[50:51], v[87:88], v[50:51]
	v_mul_f64 v[87:88], v[85:86], s[48:49]
	v_add_f64 v[46:47], v[99:100], v[46:47]
	;; [unrolled: 5-line block ×5, first 2 shown]
	v_fma_f64 v[87:88], v[70:71], s[22:23], -v[97:98]
	v_fma_f64 v[99:100], v[70:71], s[22:23], v[97:98]
	v_add_f64 v[66:67], v[87:88], v[66:67]
	v_mul_f64 v[87:88], v[85:86], s[56:57]
	v_mul_f64 v[85:86], v[85:86], s[46:47]
	v_add_f64 v[62:63], v[99:100], v[62:63]
	v_fma_f64 v[97:98], v[68:69], s[20:21], -v[87:88]
	v_fma_f64 v[87:88], v[68:69], s[20:21], v[87:88]
	v_add_f64 v[93:94], v[97:98], v[93:94]
	v_mul_f64 v[97:98], v[83:84], s[56:57]
	v_add_f64 v[75:76], v[87:88], v[75:76]
	v_mul_f64 v[83:84], v[83:84], s[46:47]
	v_fma_f64 v[87:88], v[70:71], s[20:21], -v[97:98]
	v_fma_f64 v[99:100], v[70:71], s[20:21], v[97:98]
	v_add_f64 v[77:78], v[87:88], v[77:78]
	v_fma_f64 v[87:88], v[68:69], s[4:5], -v[85:86]
	v_fma_f64 v[85:86], v[68:69], s[4:5], v[85:86]
	v_add_f64 v[95:96], v[99:100], v[95:96]
	v_add_f64 v[79:80], v[87:88], v[79:80]
	v_fma_f64 v[87:88], v[70:71], s[4:5], v[83:84]
	v_add_f64 v[22:23], v[85:86], v[22:23]
	v_add_f64 v[85:86], v[176:177], -v[148:149]
	v_fma_f64 v[83:84], v[70:71], s[4:5], -v[83:84]
	v_add_f64 v[81:82], v[87:88], v[81:82]
	v_add_f64 v[87:88], v[178:179], -v[150:151]
	v_mul_f64 v[2:3], v[85:86], s[26:27]
	v_add_f64 v[83:84], v[83:84], v[20:21]
	v_mul_f64 v[0:1], v[87:88], s[26:27]
	buffer_store_dword v0, off, s[60:63], 0 offset:904 ; 4-byte Folded Spill
	s_nop 0
	buffer_store_dword v1, off, s[60:63], 0 offset:908 ; 4-byte Folded Spill
	buffer_store_dword v2, off, s[60:63], 0 offset:920 ; 4-byte Folded Spill
	s_nop 0
	buffer_store_dword v3, off, s[60:63], 0 offset:924 ; 4-byte Folded Spill
	v_fma_f64 v[20:21], v[248:249], s[18:19], v[0:1]
	v_mul_f64 v[0:1], v[87:88], s[54:55]
	buffer_store_dword v0, off, s[60:63], 0 offset:936 ; 4-byte Folded Spill
	s_nop 0
	buffer_store_dword v1, off, s[60:63], 0 offset:940 ; 4-byte Folded Spill
	v_add_f64 v[97:98], v[20:21], v[24:25]
	v_fma_f64 v[20:21], v[250:251], s[18:19], -v[2:3]
	v_mul_f64 v[2:3], v[85:86], s[54:55]
	buffer_store_dword v2, off, s[60:63], 0 offset:968 ; 4-byte Folded Spill
	s_nop 0
	buffer_store_dword v3, off, s[60:63], 0 offset:972 ; 4-byte Folded Spill
	v_add_f64 v[99:100], v[20:21], v[30:31]
	v_fma_f64 v[24:25], v[248:249], s[22:23], v[0:1]
	v_mul_f64 v[0:1], v[87:88], s[46:47]
	buffer_store_dword v0, off, s[60:63], 0 offset:952 ; 4-byte Folded Spill
	s_nop 0
	buffer_store_dword v1, off, s[60:63], 0 offset:956 ; 4-byte Folded Spill
	v_add_f64 v[101:102], v[24:25], v[32:33]
	v_fma_f64 v[24:25], v[250:251], s[22:23], -v[2:3]
	v_mul_f64 v[2:3], v[85:86], s[46:47]
	v_add_f64 v[103:104], v[24:25], v[34:35]
	v_mov_b32_e32 v73, v3
	v_mov_b32_e32 v72, v2
	v_fma_f64 v[24:25], v[248:249], s[4:5], v[0:1]
	v_mul_f64 v[0:1], v[113:114], s[28:29]
	buffer_store_dword v0, off, s[60:63], 0 offset:984 ; 4-byte Folded Spill
	s_nop 0
	buffer_store_dword v1, off, s[60:63], 0 offset:988 ; 4-byte Folded Spill
	v_add_f64 v[105:106], v[24:25], v[40:41]
	v_fma_f64 v[24:25], v[250:251], s[4:5], -v[2:3]
	v_add_f64 v[107:108], v[24:25], v[42:43]
	v_mul_f64 v[24:25], v[87:88], s[48:49]
	v_fma_f64 v[32:33], v[248:249], s[12:13], -v[24:25]
	v_fma_f64 v[24:25], v[248:249], s[12:13], v[24:25]
	v_add_f64 v[109:110], v[32:33], v[44:45]
	v_mul_f64 v[32:33], v[85:86], s[48:49]
	v_add_f64 v[48:49], v[24:25], v[48:49]
	v_fma_f64 v[24:25], v[250:251], s[12:13], -v[32:33]
	v_fma_f64 v[34:35], v[250:251], s[12:13], v[32:33]
	v_add_f64 v[111:112], v[24:25], v[50:51]
	v_mul_f64 v[24:25], v[87:88], s[40:41]
	v_add_f64 v[46:47], v[34:35], v[46:47]
	;; [unrolled: 5-line block ×7, first 2 shown]
	v_fma_f64 v[24:25], v[250:251], s[0:1], -v[32:33]
	v_fma_f64 v[34:35], v[250:251], s[0:1], v[32:33]
	v_add_f64 v[77:78], v[24:25], v[77:78]
	v_mul_f64 v[24:25], v[87:88], s[28:29]
	v_add_f64 v[87:88], v[124:125], -v[144:145]
	v_add_f64 v[95:96], v[34:35], v[95:96]
	v_fma_f64 v[32:33], v[248:249], s[20:21], -v[24:25]
	v_fma_f64 v[24:25], v[248:249], s[20:21], v[24:25]
	v_mul_f64 v[2:3], v[87:88], s[28:29]
	buffer_store_dword v2, off, s[60:63], 0 offset:992 ; 4-byte Folded Spill
	s_nop 0
	buffer_store_dword v3, off, s[60:63], 0 offset:996 ; 4-byte Folded Spill
	v_add_f64 v[79:80], v[32:33], v[79:80]
	v_mul_f64 v[32:33], v[85:86], s[28:29]
	v_add_f64 v[85:86], v[24:25], v[22:23]
	v_add_f64 v[24:25], v[126:127], v[146:147]
	v_mul_f64 v[42:43], v[87:88], s[52:53]
	v_mul_f64 v[50:51], v[87:88], s[36:37]
	v_fma_f64 v[22:23], v[250:251], s[20:21], -v[32:33]
	v_fma_f64 v[34:35], v[250:251], s[20:21], v[32:33]
	v_add_f64 v[83:84], v[22:23], v[83:84]
	v_add_f64 v[22:23], v[124:125], v[144:145]
	;; [unrolled: 1-line block ×3, first 2 shown]
	v_fma_f64 v[40:41], v[22:23], s[20:21], v[0:1]
	v_mul_f64 v[0:1], v[113:114], s[52:53]
	buffer_store_dword v0, off, s[60:63], 0 offset:1000 ; 4-byte Folded Spill
	s_nop 0
	buffer_store_dword v1, off, s[60:63], 0 offset:1004 ; 4-byte Folded Spill
	v_add_f64 v[97:98], v[40:41], v[97:98]
	v_fma_f64 v[40:41], v[24:25], s[20:21], -v[2:3]
	v_mul_f64 v[2:3], v[188:189], s[56:57]
	v_add_f64 v[99:100], v[40:41], v[99:100]
	v_fma_f64 v[44:45], v[22:23], s[18:19], v[0:1]
	v_add_f64 v[101:102], v[44:45], v[101:102]
	v_fma_f64 v[44:45], v[24:25], s[18:19], -v[42:43]
	v_add_f64 v[103:104], v[44:45], v[103:104]
	v_mul_f64 v[44:45], v[113:114], s[36:37]
	v_fma_f64 v[115:116], v[22:23], s[0:1], v[44:45]
	v_add_f64 v[105:106], v[115:116], v[105:106]
	v_fma_f64 v[115:116], v[24:25], s[0:1], -v[50:51]
	v_add_f64 v[107:108], v[115:116], v[107:108]
	v_mul_f64 v[115:116], v[113:114], s[30:31]
	v_fma_f64 v[236:237], v[22:23], s[22:23], -v[115:116]
	v_add_f64 v[109:110], v[236:237], v[109:110]
	v_mul_f64 v[236:237], v[87:88], s[30:31]
	v_fma_f64 v[238:239], v[24:25], s[22:23], v[236:237]
	v_add_f64 v[238:239], v[238:239], v[46:47]
	v_fma_f64 v[46:47], v[22:23], s[22:23], v[115:116]
	v_add_f64 v[115:116], v[46:47], v[48:49]
	v_fma_f64 v[46:47], v[24:25], s[22:23], -v[236:237]
	v_add_f64 v[111:112], v[46:47], v[111:112]
	v_mul_f64 v[46:47], v[113:114], s[50:51]
	v_fma_f64 v[48:49], v[22:23], s[16:17], -v[46:47]
	v_fma_f64 v[46:47], v[22:23], s[16:17], v[46:47]
	v_add_f64 v[89:90], v[48:49], v[89:90]
	v_mul_f64 v[48:49], v[87:88], s[50:51]
	v_fma_f64 v[236:237], v[24:25], s[16:17], v[48:49]
	v_add_f64 v[91:92], v[236:237], v[91:92]
	v_add_f64 v[236:237], v[46:47], v[56:57]
	v_fma_f64 v[46:47], v[24:25], s[16:17], -v[48:49]
	v_add_f64 v[240:241], v[46:47], v[58:59]
	v_mul_f64 v[46:47], v[113:114], s[42:43]
	v_mul_f64 v[58:59], v[188:189], s[30:31]
	v_fma_f64 v[48:49], v[22:23], s[4:5], -v[46:47]
	v_fma_f64 v[46:47], v[22:23], s[4:5], v[46:47]
	v_add_f64 v[242:243], v[48:49], v[60:61]
	v_mul_f64 v[48:49], v[87:88], s[42:43]
	v_add_f64 v[246:247], v[46:47], v[64:65]
	v_fma_f64 v[46:47], v[24:25], s[4:5], -v[48:49]
	v_fma_f64 v[56:57], v[24:25], s[4:5], v[48:49]
	v_add_f64 v[252:253], v[46:47], v[66:67]
	v_mul_f64 v[46:47], v[113:114], s[40:41]
	v_add_f64 v[244:245], v[56:57], v[62:63]
	v_mul_f64 v[62:63], v[188:189], s[34:35]
	v_mul_f64 v[66:67], v[188:189], s[38:39]
	v_fma_f64 v[48:49], v[22:23], s[24:25], -v[46:47]
	v_fma_f64 v[46:47], v[22:23], s[24:25], v[46:47]
	v_add_f64 v[93:94], v[48:49], v[93:94]
	v_mul_f64 v[48:49], v[87:88], s[40:41]
	v_add_f64 v[75:76], v[46:47], v[75:76]
	v_fma_f64 v[46:47], v[24:25], s[24:25], -v[48:49]
	v_fma_f64 v[56:57], v[24:25], s[24:25], v[48:49]
	v_add_f64 v[77:78], v[46:47], v[77:78]
	v_mul_f64 v[46:47], v[113:114], s[34:35]
	v_add_f64 v[95:96], v[56:57], v[95:96]
	;; [unrolled: 5-line block ×3, first 2 shown]
	v_fma_f64 v[46:47], v[24:25], s[12:13], -v[48:49]
	v_fma_f64 v[56:57], v[24:25], s[12:13], v[48:49]
	v_add_f64 v[48:49], v[130:131], v[142:143]
	v_add_f64 v[254:255], v[46:47], v[83:84]
	v_add_f64 v[83:84], v[130:131], -v[142:143]
	v_add_f64 v[81:82], v[56:57], v[81:82]
	v_add_f64 v[46:47], v[128:129], v[140:141]
	v_mul_f64 v[56:57], v[83:84], s[30:31]
	v_fma_f64 v[60:61], v[46:47], s[22:23], v[56:57]
	v_add_f64 v[190:191], v[60:61], v[97:98]
	v_fma_f64 v[60:61], v[48:49], s[22:23], -v[58:59]
	v_add_f64 v[20:21], v[60:61], v[99:100]
	v_mul_f64 v[60:61], v[83:84], s[34:35]
	v_fma_f64 v[64:65], v[46:47], s[12:13], v[60:61]
	v_add_f64 v[30:31], v[64:65], v[101:102]
	v_fma_f64 v[64:65], v[48:49], s[12:13], -v[62:63]
	;; [unrolled: 5-line block ×3, first 2 shown]
	v_add_f64 v[40:41], v[87:88], v[107:108]
	v_mul_f64 v[87:88], v[83:84], s[56:57]
	v_fma_f64 v[97:98], v[46:47], s[20:21], -v[87:88]
	v_fma_f64 v[6:7], v[46:47], s[20:21], v[87:88]
	v_add_f64 v[0:1], v[97:98], v[109:110]
	v_fma_f64 v[97:98], v[48:49], s[20:21], v[2:3]
	v_fma_f64 v[2:3], v[48:49], s[20:21], -v[2:3]
	v_add_f64 v[115:116], v[6:7], v[115:116]
	v_add_f64 v[4:5], v[97:98], v[238:239]
	;; [unrolled: 1-line block ×3, first 2 shown]
	v_mul_f64 v[2:3], v[83:84], s[36:37]
	v_add_f64 v[238:239], v[134:135], v[138:139]
	v_fma_f64 v[6:7], v[46:47], s[0:1], -v[2:3]
	v_fma_f64 v[2:3], v[46:47], s[0:1], v[2:3]
	v_add_f64 v[109:110], v[6:7], v[89:90]
	v_mul_f64 v[6:7], v[188:189], s[36:37]
	v_add_f64 v[107:108], v[2:3], v[236:237]
	v_add_f64 v[236:237], v[132:133], v[136:137]
	v_fma_f64 v[2:3], v[48:49], s[0:1], -v[6:7]
	v_fma_f64 v[87:88], v[48:49], s[0:1], v[6:7]
	v_add_f64 v[105:106], v[2:3], v[240:241]
	v_mul_f64 v[2:3], v[83:84], s[40:41]
	v_add_f64 v[111:112], v[87:88], v[91:92]
	v_fma_f64 v[6:7], v[46:47], s[24:25], -v[2:3]
	v_fma_f64 v[2:3], v[46:47], s[24:25], v[2:3]
	v_add_f64 v[101:102], v[6:7], v[242:243]
	v_mul_f64 v[6:7], v[188:189], s[40:41]
	;; [unrolled: 5-line block ×4, first 2 shown]
	v_add_f64 v[89:90], v[2:3], v[75:76]
	v_fma_f64 v[87:88], v[48:49], s[4:5], v[6:7]
	v_fma_f64 v[2:3], v[48:49], s[4:5], -v[6:7]
	v_add_f64 v[93:94], v[87:88], v[95:96]
	v_add_f64 v[87:88], v[2:3], v[77:78]
	v_mul_f64 v[2:3], v[83:84], s[26:27]
	v_add_f64 v[95:96], v[134:135], -v[138:139]
	v_fma_f64 v[6:7], v[46:47], s[18:19], -v[2:3]
	v_fma_f64 v[2:3], v[46:47], s[18:19], v[2:3]
	v_mul_f64 v[240:241], v[95:96], s[40:41]
	v_mul_f64 v[244:245], v[95:96], s[44:45]
	v_mul_f64 v[252:253], v[95:96], s[30:31]
	v_add_f64 v[83:84], v[6:7], v[79:80]
	v_mul_f64 v[6:7], v[188:189], s[26:27]
	v_add_f64 v[79:80], v[2:3], v[85:86]
	v_add_f64 v[85:86], v[132:133], -v[136:137]
	v_fma_f64 v[2:3], v[48:49], s[18:19], -v[6:7]
	v_fma_f64 v[75:76], v[48:49], s[18:19], v[6:7]
	v_mul_f64 v[242:243], v[85:86], s[40:41]
	v_mul_f64 v[246:247], v[85:86], s[44:45]
	v_add_f64 v[77:78], v[2:3], v[254:255]
	v_fma_f64 v[2:3], v[236:237], s[24:25], v[240:241]
	v_add_f64 v[81:82], v[75:76], v[81:82]
	v_mul_f64 v[75:76], v[85:86], s[30:31]
	v_add_f64 v[188:189], v[2:3], v[190:191]
	v_fma_f64 v[2:3], v[238:239], s[24:25], -v[242:243]
	v_add_f64 v[190:191], v[2:3], v[20:21]
	v_fma_f64 v[2:3], v[236:237], s[0:1], v[244:245]
	buffer_store_dword v188, off, s[60:63], 0 offset:4 ; 4-byte Folded Spill
	s_nop 0
	buffer_store_dword v189, off, s[60:63], 0 offset:8 ; 4-byte Folded Spill
	buffer_store_dword v190, off, s[60:63], 0 offset:12 ; 4-byte Folded Spill
	;; [unrolled: 1-line block ×3, first 2 shown]
	v_add_f64 v[30:31], v[2:3], v[30:31]
	v_fma_f64 v[2:3], v[238:239], s[0:1], -v[246:247]
	v_add_f64 v[32:33], v[2:3], v[32:33]
	v_fma_f64 v[2:3], v[236:237], s[22:23], v[252:253]
	buffer_store_dword v30, off, s[60:63], 0 offset:20 ; 4-byte Folded Spill
	s_nop 0
	buffer_store_dword v31, off, s[60:63], 0 offset:24 ; 4-byte Folded Spill
	buffer_store_dword v32, off, s[60:63], 0 offset:28 ; 4-byte Folded Spill
	;; [unrolled: 1-line block ×3, first 2 shown]
	v_add_f64 v[30:31], v[2:3], v[34:35]
	v_fma_f64 v[2:3], v[238:239], s[22:23], -v[75:76]
	v_add_f64 v[32:33], v[2:3], v[40:41]
	v_mul_f64 v[2:3], v[95:96], s[46:47]
	buffer_store_dword v30, off, s[60:63], 0 offset:36 ; 4-byte Folded Spill
	s_nop 0
	buffer_store_dword v31, off, s[60:63], 0 offset:40 ; 4-byte Folded Spill
	buffer_store_dword v32, off, s[60:63], 0 offset:44 ; 4-byte Folded Spill
	;; [unrolled: 1-line block ×3, first 2 shown]
	v_fma_f64 v[6:7], v[236:237], s[4:5], -v[2:3]
	v_fma_f64 v[2:3], v[236:237], s[4:5], v[2:3]
	v_add_f64 v[30:31], v[6:7], v[0:1]
	v_mul_f64 v[0:1], v[85:86], s[46:47]
	v_add_f64 v[2:3], v[2:3], v[115:116]
	v_fma_f64 v[6:7], v[238:239], s[4:5], v[0:1]
	v_fma_f64 v[0:1], v[238:239], s[4:5], -v[0:1]
	v_add_f64 v[32:33], v[6:7], v[4:5]
	v_add_f64 v[4:5], v[0:1], v[113:114]
	v_mul_f64 v[0:1], v[95:96], s[28:29]
	buffer_store_dword v30, off, s[60:63], 0 offset:52 ; 4-byte Folded Spill
	s_nop 0
	buffer_store_dword v31, off, s[60:63], 0 offset:56 ; 4-byte Folded Spill
	buffer_store_dword v32, off, s[60:63], 0 offset:60 ; 4-byte Folded Spill
	;; [unrolled: 1-line block ×4, first 2 shown]
	s_nop 0
	buffer_store_dword v3, off, s[60:63], 0 offset:72 ; 4-byte Folded Spill
	buffer_store_dword v4, off, s[60:63], 0 offset:76 ; 4-byte Folded Spill
	;; [unrolled: 1-line block ×3, first 2 shown]
	v_fma_f64 v[2:3], v[236:237], s[20:21], -v[0:1]
	v_fma_f64 v[0:1], v[236:237], s[20:21], v[0:1]
	v_add_f64 v[30:31], v[2:3], v[109:110]
	v_mul_f64 v[2:3], v[85:86], s[28:29]
	v_fma_f64 v[4:5], v[238:239], s[20:21], v[2:3]
	v_add_f64 v[32:33], v[4:5], v[111:112]
	v_add_f64 v[4:5], v[0:1], v[107:108]
	v_fma_f64 v[0:1], v[238:239], s[20:21], -v[2:3]
	buffer_store_dword v30, off, s[60:63], 0 offset:84 ; 4-byte Folded Spill
	s_nop 0
	buffer_store_dword v31, off, s[60:63], 0 offset:88 ; 4-byte Folded Spill
	buffer_store_dword v32, off, s[60:63], 0 offset:92 ; 4-byte Folded Spill
	;; [unrolled: 1-line block ×3, first 2 shown]
	v_add_f64 v[6:7], v[0:1], v[105:106]
	v_mul_f64 v[0:1], v[95:96], s[34:35]
	buffer_store_dword v4, off, s[60:63], 0 offset:100 ; 4-byte Folded Spill
	s_nop 0
	buffer_store_dword v5, off, s[60:63], 0 offset:104 ; 4-byte Folded Spill
	buffer_store_dword v6, off, s[60:63], 0 offset:108 ; 4-byte Folded Spill
	;; [unrolled: 1-line block ×3, first 2 shown]
	v_fma_f64 v[2:3], v[236:237], s[12:13], -v[0:1]
	v_fma_f64 v[0:1], v[236:237], s[12:13], v[0:1]
	v_add_f64 v[188:189], v[2:3], v[101:102]
	v_mul_f64 v[2:3], v[85:86], s[34:35]
	v_fma_f64 v[4:5], v[238:239], s[12:13], v[2:3]
	v_add_f64 v[190:191], v[4:5], v[103:104]
	v_add_f64 v[4:5], v[0:1], v[99:100]
	v_fma_f64 v[0:1], v[238:239], s[12:13], -v[2:3]
	v_add_f64 v[6:7], v[0:1], v[97:98]
	v_mul_f64 v[0:1], v[95:96], s[26:27]
	buffer_store_dword v4, off, s[60:63], 0 offset:116 ; 4-byte Folded Spill
	s_nop 0
	buffer_store_dword v5, off, s[60:63], 0 offset:120 ; 4-byte Folded Spill
	buffer_store_dword v6, off, s[60:63], 0 offset:124 ; 4-byte Folded Spill
	;; [unrolled: 1-line block ×3, first 2 shown]
	v_fma_f64 v[2:3], v[236:237], s[18:19], -v[0:1]
	v_fma_f64 v[0:1], v[236:237], s[18:19], v[0:1]
	v_add_f64 v[30:31], v[2:3], v[91:92]
	v_mul_f64 v[2:3], v[85:86], s[26:27]
	v_fma_f64 v[4:5], v[238:239], s[18:19], v[2:3]
	v_add_f64 v[32:33], v[4:5], v[93:94]
	v_add_f64 v[4:5], v[0:1], v[89:90]
	v_fma_f64 v[0:1], v[238:239], s[18:19], -v[2:3]
	buffer_store_dword v30, off, s[60:63], 0 offset:132 ; 4-byte Folded Spill
	s_nop 0
	buffer_store_dword v31, off, s[60:63], 0 offset:136 ; 4-byte Folded Spill
	buffer_store_dword v32, off, s[60:63], 0 offset:140 ; 4-byte Folded Spill
	;; [unrolled: 1-line block ×3, first 2 shown]
	v_add_f64 v[6:7], v[0:1], v[87:88]
	v_mul_f64 v[0:1], v[95:96], s[50:51]
	buffer_store_dword v4, off, s[60:63], 0 offset:148 ; 4-byte Folded Spill
	s_nop 0
	buffer_store_dword v5, off, s[60:63], 0 offset:152 ; 4-byte Folded Spill
	buffer_store_dword v6, off, s[60:63], 0 offset:156 ; 4-byte Folded Spill
	;; [unrolled: 1-line block ×3, first 2 shown]
	v_fma_f64 v[2:3], v[236:237], s[16:17], -v[0:1]
	v_fma_f64 v[0:1], v[236:237], s[16:17], v[0:1]
	v_add_f64 v[30:31], v[2:3], v[83:84]
	v_mul_f64 v[2:3], v[85:86], s[50:51]
	v_fma_f64 v[4:5], v[238:239], s[16:17], v[2:3]
	v_add_f64 v[32:33], v[4:5], v[81:82]
	v_add_f64 v[4:5], v[0:1], v[79:80]
	v_fma_f64 v[0:1], v[238:239], s[16:17], -v[2:3]
	buffer_store_dword v30, off, s[60:63], 0 offset:164 ; 4-byte Folded Spill
	s_nop 0
	buffer_store_dword v31, off, s[60:63], 0 offset:168 ; 4-byte Folded Spill
	buffer_store_dword v32, off, s[60:63], 0 offset:172 ; 4-byte Folded Spill
	;; [unrolled: 1-line block ×3, first 2 shown]
	v_add_f64 v[6:7], v[0:1], v[77:78]
	buffer_store_dword v4, off, s[60:63], 0 offset:180 ; 4-byte Folded Spill
	s_nop 0
	buffer_store_dword v5, off, s[60:63], 0 offset:184 ; 4-byte Folded Spill
	buffer_store_dword v6, off, s[60:63], 0 offset:188 ; 4-byte Folded Spill
	;; [unrolled: 1-line block ×3, first 2 shown]
	s_waitcnt vmcnt(0)
	s_barrier
	buffer_load_dword v111, off, s[60:63], 0 offset:480 ; 4-byte Folded Reload
	v_mul_lo_u16_e32 v0, 17, v74
	s_waitcnt vmcnt(0)
	v_lshlrev_b32_e32 v109, 4, v111
	v_lshl_add_u32 v118, v0, 4, v109
	buffer_load_dword v0, off, s[60:63], 0 offset:504 ; 4-byte Folded Reload
	buffer_load_dword v1, off, s[60:63], 0 offset:508 ; 4-byte Folded Reload
	;; [unrolled: 1-line block ×4, first 2 shown]
	s_waitcnt vmcnt(0)
	ds_write_b128 v118, v[0:3]
	buffer_load_dword v0, off, s[60:63], 0 offset:536 ; 4-byte Folded Reload
	buffer_load_dword v1, off, s[60:63], 0 offset:540 ; 4-byte Folded Reload
	;; [unrolled: 1-line block ×4, first 2 shown]
	s_waitcnt vmcnt(0)
	ds_write_b128 v118, v[0:3] offset:16
	ds_write_b128 v118, v[192:195] offset:32
	;; [unrolled: 1-line block ×15, first 2 shown]
	buffer_load_dword v0, off, s[60:63], 0 offset:520 ; 4-byte Folded Reload
	buffer_load_dword v1, off, s[60:63], 0 offset:524 ; 4-byte Folded Reload
	;; [unrolled: 1-line block ×4, first 2 shown]
	s_waitcnt vmcnt(0)
	ds_write_b128 v118, v[0:3] offset:256
	buffer_load_dword v0, off, s[60:63], 0 offset:552 ; 4-byte Folded Reload
	s_waitcnt vmcnt(0)
	v_mul_u32_u24_e32 v0, 17, v0
	buffer_store_dword v0, off, s[60:63], 0 offset:504 ; 4-byte Folded Spill
	s_and_saveexec_b64 s[26:27], vcc
	s_cbranch_execz .LBB0_7
; %bb.6:
	buffer_load_dword v6, off, s[60:63], 0 offset:648 ; 4-byte Folded Reload
	buffer_load_dword v7, off, s[60:63], 0 offset:652 ; 4-byte Folded Reload
	buffer_load_dword v12, off, s[60:63], 0 offset:744 ; 4-byte Folded Reload
	buffer_load_dword v13, off, s[60:63], 0 offset:748 ; 4-byte Folded Reload
	v_mul_f64 v[4:5], v[28:29], s[12:13]
	buffer_load_dword v18, off, s[60:63], 0 offset:824 ; 4-byte Folded Reload
	buffer_load_dword v19, off, s[60:63], 0 offset:828 ; 4-byte Folded Reload
	v_mul_f64 v[30:31], v[38:39], s[4:5]
	v_mul_f64 v[32:33], v[38:39], s[16:17]
	;; [unrolled: 1-line block ×13, first 2 shown]
	v_add_f64 v[16:17], v[72:73], v[16:17]
	v_mul_f64 v[79:80], v[250:251], s[18:19]
	v_add_f64 v[2:3], v[120:121], v[168:169]
	v_add_f64 v[0:1], v[122:123], v[170:171]
	v_mul_f64 v[77:78], v[248:249], s[18:19]
	v_mul_f64 v[81:82], v[248:249], s[22:23]
	v_add_f64 v[66:67], v[66:67], v[89:90]
	v_mul_f64 v[93:94], v[236:237], s[0:1]
	v_mul_f64 v[85:86], v[248:249], s[4:5]
	;; [unrolled: 1-line block ×3, first 2 shown]
	v_add_f64 v[2:3], v[2:3], v[172:173]
	v_add_f64 v[0:1], v[0:1], v[174:175]
	v_mul_f64 v[95:96], v[238:239], s[0:1]
	v_mul_f64 v[97:98], v[236:237], s[22:23]
	v_add_f64 v[2:3], v[2:3], v[180:181]
	v_add_f64 v[0:1], v[0:1], v[182:183]
	;; [unrolled: 1-line block ×12, first 2 shown]
	s_waitcnt vmcnt(4)
	v_add_f64 v[4:5], v[6:7], v[4:5]
	v_mul_f64 v[6:7], v[38:39], s[20:21]
	s_waitcnt vmcnt(0)
	v_add_f64 v[10:11], v[18:19], v[10:11]
	v_mul_f64 v[18:19], v[26:27], s[4:5]
	v_mul_f64 v[26:27], v[24:25], s[0:1]
	v_add_f64 v[2:3], v[2:3], v[136:137]
	v_add_f64 v[0:1], v[0:1], v[138:139]
	v_add_f64 v[4:5], v[122:123], v[4:5]
	v_add_f64 v[6:7], v[12:13], v[6:7]
	v_mul_f64 v[12:13], v[28:29], s[0:1]
	v_add_f64 v[26:27], v[50:51], v[26:27]
	v_mul_f64 v[50:51], v[54:55], s[20:21]
	v_add_f64 v[2:3], v[2:3], v[140:141]
	v_add_f64 v[0:1], v[0:1], v[142:143]
	;; [unrolled: 1-line block ×3, first 2 shown]
	v_mul_f64 v[6:7], v[28:29], s[4:5]
	buffer_load_dword v28, off, s[60:63], 0 offset:976 ; 4-byte Folded Reload
	buffer_load_dword v29, off, s[60:63], 0 offset:980 ; 4-byte Folded Reload
	;; [unrolled: 1-line block ×4, first 2 shown]
	v_add_f64 v[2:3], v[2:3], v[144:145]
	v_add_f64 v[0:1], v[0:1], v[146:147]
	;; [unrolled: 1-line block ×3, first 2 shown]
	v_mul_f64 v[10:11], v[36:37], s[16:17]
	v_add_f64 v[2:3], v[2:3], v[148:149]
	v_add_f64 v[0:1], v[0:1], v[150:151]
	;; [unrolled: 1-line block ×7, first 2 shown]
	s_waitcnt vmcnt(2)
	v_add_f64 v[14:15], v[28:29], v[14:15]
	v_mul_f64 v[28:29], v[36:37], s[4:5]
	v_mul_f64 v[36:37], v[52:53], s[24:25]
	s_waitcnt vmcnt(0)
	v_add_f64 v[20:21], v[20:21], -v[38:39]
	v_mul_f64 v[38:39], v[52:53], s[12:13]
	buffer_load_dword v52, off, s[60:63], 0 offset:616 ; 4-byte Folded Reload
	buffer_load_dword v53, off, s[60:63], 0 offset:620 ; 4-byte Folded Reload
	v_add_f64 v[4:5], v[14:15], v[4:5]
	v_mul_f64 v[14:15], v[54:55], s[12:13]
	buffer_load_dword v54, off, s[60:63], 0 offset:816 ; 4-byte Folded Reload
	buffer_load_dword v55, off, s[60:63], 0 offset:820 ; 4-byte Folded Reload
	;; [unrolled: 1-line block ×4, first 2 shown]
	v_add_f64 v[20:21], v[120:121], v[20:21]
	v_add_f64 v[4:5], v[16:17], v[4:5]
	v_mul_f64 v[16:17], v[68:69], s[24:25]
	v_add_f64 v[4:5], v[26:27], v[4:5]
	v_add_f64 v[4:5], v[66:67], v[4:5]
	s_waitcnt vmcnt(4)
	v_add_f64 v[6:7], v[52:53], v[6:7]
	v_mul_f64 v[52:53], v[68:69], s[16:17]
	v_mul_f64 v[68:69], v[68:69], s[18:19]
	s_waitcnt vmcnt(2)
	v_add_f64 v[36:37], v[36:37], -v[54:55]
	s_waitcnt vmcnt(0)
	v_add_f64 v[32:33], v[72:73], v[32:33]
	buffer_load_dword v72, off, s[60:63], 0 offset:728 ; 4-byte Folded Reload
	buffer_load_dword v73, off, s[60:63], 0 offset:732 ; 4-byte Folded Reload
	v_mul_f64 v[54:55], v[70:71], s[16:17]
	v_mul_f64 v[70:71], v[70:71], s[24:25]
	v_add_f64 v[6:7], v[122:123], v[6:7]
	v_add_f64 v[6:7], v[32:33], v[6:7]
	v_mul_f64 v[32:33], v[22:23], s[20:21]
	v_mul_f64 v[22:23], v[22:23], s[0:1]
	v_add_f64 v[22:23], v[22:23], -v[44:45]
	s_waitcnt vmcnt(0)
	v_add_f64 v[34:35], v[34:35], -v[72:73]
	buffer_load_dword v72, off, s[60:63], 0 offset:808 ; 4-byte Folded Reload
	buffer_load_dword v73, off, s[60:63], 0 offset:812 ; 4-byte Folded Reload
	v_add_f64 v[20:21], v[34:35], v[20:21]
	v_mul_f64 v[34:35], v[24:25], s[20:21]
	v_mul_f64 v[24:25], v[24:25], s[18:19]
	v_add_f64 v[20:21], v[36:37], v[20:21]
	v_mul_f64 v[36:37], v[48:49], s[22:23]
	v_mul_f64 v[48:49], v[48:49], s[12:13]
	v_add_f64 v[24:25], v[42:43], v[24:25]
	v_add_f64 v[42:43], v[62:63], v[48:49]
	s_waitcnt vmcnt(0)
	v_add_f64 v[50:51], v[72:73], v[50:51]
	buffer_load_dword v72, off, s[60:63], 0 offset:888 ; 4-byte Folded Reload
	buffer_load_dword v73, off, s[60:63], 0 offset:892 ; 4-byte Folded Reload
	v_add_f64 v[6:7], v[50:51], v[6:7]
	v_mul_f64 v[50:51], v[46:47], s[22:23]
	v_mul_f64 v[46:47], v[46:47], s[16:17]
	v_add_f64 v[44:45], v[46:47], -v[64:65]
	s_waitcnt vmcnt(0)
	v_add_f64 v[70:71], v[72:73], v[70:71]
	buffer_load_dword v72, off, s[60:63], 0 offset:872 ; 4-byte Folded Reload
	buffer_load_dword v73, off, s[60:63], 0 offset:876 ; 4-byte Folded Reload
	v_add_f64 v[6:7], v[70:71], v[6:7]
	v_mul_f64 v[70:71], v[236:237], s[24:25]
	s_waitcnt vmcnt(0)
	v_add_f64 v[68:69], v[68:69], -v[72:73]
	buffer_load_dword v72, off, s[60:63], 0 offset:968 ; 4-byte Folded Reload
	buffer_load_dword v73, off, s[60:63], 0 offset:972 ; 4-byte Folded Reload
	v_add_f64 v[20:21], v[68:69], v[20:21]
	v_mul_f64 v[68:69], v[238:239], s[22:23]
	v_add_f64 v[26:27], v[75:76], v[68:69]
	s_waitcnt vmcnt(0)
	v_add_f64 v[83:84], v[72:73], v[83:84]
	buffer_load_dword v72, off, s[60:63], 0 offset:952 ; 4-byte Folded Reload
	buffer_load_dword v73, off, s[60:63], 0 offset:956 ; 4-byte Folded Reload
	;; [unrolled: 1-line block ×4, first 2 shown]
	v_add_f64 v[6:7], v[83:84], v[6:7]
	v_add_f64 v[6:7], v[24:25], v[6:7]
	v_add_f64 v[24:25], v[97:98], -v[252:253]
	v_add_f64 v[6:7], v[42:43], v[6:7]
	buffer_load_dword v42, off, s[60:63], 0 offset:568 ; 4-byte Folded Reload
	buffer_load_dword v43, off, s[60:63], 0 offset:572 ; 4-byte Folded Reload
	s_waitcnt vmcnt(4)
	v_add_f64 v[85:86], v[85:86], -v[72:73]
	s_waitcnt vmcnt(2)
	v_add_f64 v[12:13], v[46:47], v[12:13]
	v_add_f64 v[20:21], v[85:86], v[20:21]
	;; [unrolled: 1-line block ×5, first 2 shown]
	s_waitcnt vmcnt(0)
	v_add_f64 v[8:9], v[8:9], -v[42:43]
	buffer_load_dword v42, off, s[60:63], 0 offset:600 ; 4-byte Folded Reload
	buffer_load_dword v43, off, s[60:63], 0 offset:604 ; 4-byte Folded Reload
	v_add_f64 v[6:7], v[22:23], v[6:7]
	v_add_f64 v[8:9], v[120:121], v[8:9]
	s_waitcnt vmcnt(0)
	v_add_f64 v[18:19], v[18:19], -v[42:43]
	buffer_load_dword v42, off, s[60:63], 0 offset:696 ; 4-byte Folded Reload
	buffer_load_dword v43, off, s[60:63], 0 offset:700 ; 4-byte Folded Reload
	v_add_f64 v[18:19], v[120:121], v[18:19]
	s_waitcnt vmcnt(0)
	v_add_f64 v[10:11], v[10:11], -v[42:43]
	buffer_load_dword v42, off, s[60:63], 0 offset:680 ; 4-byte Folded Reload
	buffer_load_dword v43, off, s[60:63], 0 offset:684 ; 4-byte Folded Reload
	v_add_f64 v[10:11], v[10:11], v[18:19]
	s_waitcnt vmcnt(0)
	v_add_f64 v[30:31], v[42:43], v[30:31]
	buffer_load_dword v42, off, s[60:63], 0 offset:664 ; 4-byte Folded Reload
	buffer_load_dword v43, off, s[60:63], 0 offset:668 ; 4-byte Folded Reload
	v_add_f64 v[12:13], v[30:31], v[12:13]
	s_waitcnt vmcnt(0)
	v_add_f64 v[28:29], v[28:29], -v[42:43]
	buffer_load_dword v42, off, s[60:63], 0 offset:792 ; 4-byte Folded Reload
	buffer_load_dword v43, off, s[60:63], 0 offset:796 ; 4-byte Folded Reload
	v_add_f64 v[8:9], v[28:29], v[8:9]
	s_waitcnt vmcnt(0)
	v_add_f64 v[40:41], v[40:41], -v[42:43]
	buffer_load_dword v42, off, s[60:63], 0 offset:776 ; 4-byte Folded Reload
	buffer_load_dword v43, off, s[60:63], 0 offset:780 ; 4-byte Folded Reload
	;; [unrolled: 1-line block ×6, first 2 shown]
	v_add_f64 v[10:11], v[40:41], v[10:11]
	s_waitcnt vmcnt(4)
	v_add_f64 v[14:15], v[42:43], v[14:15]
	s_waitcnt vmcnt(2)
	v_add_f64 v[30:31], v[38:39], -v[30:31]
	s_waitcnt vmcnt(0)
	v_add_f64 v[16:17], v[16:17], -v[18:19]
	buffer_load_dword v18, off, s[60:63], 0 offset:848 ; 4-byte Folded Reload
	buffer_load_dword v19, off, s[60:63], 0 offset:852 ; 4-byte Folded Reload
	v_add_f64 v[12:13], v[14:15], v[12:13]
	buffer_load_dword v14, off, s[60:63], 0 offset:840 ; 4-byte Folded Reload
	buffer_load_dword v15, off, s[60:63], 0 offset:844 ; 4-byte Folded Reload
	v_add_f64 v[8:9], v[30:31], v[8:9]
	buffer_load_dword v28, off, s[60:63], 0 offset:936 ; 4-byte Folded Reload
	buffer_load_dword v29, off, s[60:63], 0 offset:940 ; 4-byte Folded Reload
	;; [unrolled: 1-line block ×4, first 2 shown]
	v_add_f64 v[10:11], v[16:17], v[10:11]
	s_waitcnt vmcnt(6)
	v_add_f64 v[18:19], v[18:19], v[54:55]
	s_waitcnt vmcnt(4)
	v_add_f64 v[14:15], v[52:53], -v[14:15]
	v_add_f64 v[12:13], v[18:19], v[12:13]
	s_waitcnt vmcnt(0)
	v_add_f64 v[30:31], v[30:31], v[79:80]
	buffer_load_dword v18, off, s[60:63], 0 offset:904 ; 4-byte Folded Reload
	buffer_load_dword v19, off, s[60:63], 0 offset:908 ; 4-byte Folded Reload
	v_add_f64 v[28:29], v[81:82], -v[28:29]
	v_add_f64 v[8:9], v[14:15], v[8:9]
	buffer_load_dword v14, off, s[60:63], 0 offset:1000 ; 4-byte Folded Reload
	buffer_load_dword v15, off, s[60:63], 0 offset:1004 ; 4-byte Folded Reload
	;; [unrolled: 1-line block ×4, first 2 shown]
	v_add_f64 v[12:13], v[30:31], v[12:13]
	buffer_load_dword v30, off, s[60:63], 0 offset:984 ; 4-byte Folded Reload
	buffer_load_dword v31, off, s[60:63], 0 offset:988 ; 4-byte Folded Reload
	v_add_f64 v[10:11], v[28:29], v[10:11]
	v_add_f64 v[28:29], v[58:59], v[36:37]
	s_waitcnt vmcnt(6)
	v_add_f64 v[18:19], v[77:78], -v[18:19]
	s_waitcnt vmcnt(4)
	v_add_f64 v[14:15], v[87:88], -v[14:15]
	s_waitcnt vmcnt(2)
	v_add_f64 v[16:17], v[16:17], v[34:35]
	s_waitcnt vmcnt(0)
	v_add_f64 v[30:31], v[32:33], -v[30:31]
	v_add_f64 v[8:9], v[18:19], v[8:9]
	v_add_f64 v[18:19], v[91:92], -v[60:61]
	v_add_f64 v[32:33], v[2:3], v[160:161]
	v_add_f64 v[2:3], v[26:27], v[4:5]
	;; [unrolled: 1-line block ×4, first 2 shown]
	v_add_f64 v[16:17], v[50:51], -v[56:57]
	v_add_f64 v[14:15], v[242:243], v[89:90]
	v_add_f64 v[8:9], v[30:31], v[8:9]
	v_add_f64 v[30:31], v[93:94], -v[244:245]
	v_add_f64 v[12:13], v[28:29], v[12:13]
	v_add_f64 v[28:29], v[70:71], -v[240:241]
	v_add_f64 v[8:9], v[16:17], v[8:9]
	v_add_f64 v[16:17], v[18:19], v[10:11]
	;; [unrolled: 1-line block ×8, first 2 shown]
	buffer_load_dword v16, off, s[60:63], 0 offset:504 ; 4-byte Folded Reload
	v_add_f64 v[0:1], v[24:25], v[18:19]
	s_waitcnt vmcnt(0)
	v_lshl_add_u32 v16, v16, 4, v109
	ds_write_b128 v16, v[12:15]
	ds_write_b128 v16, v[8:11] offset:16
	ds_write_b128 v16, v[4:7] offset:32
	;; [unrolled: 1-line block ×3, first 2 shown]
	buffer_load_dword v0, off, s[60:63], 0 offset:52 ; 4-byte Folded Reload
	buffer_load_dword v1, off, s[60:63], 0 offset:56 ; 4-byte Folded Reload
	;; [unrolled: 1-line block ×4, first 2 shown]
	s_waitcnt vmcnt(0)
	ds_write_b128 v16, v[0:3] offset:64
	buffer_load_dword v0, off, s[60:63], 0 offset:84 ; 4-byte Folded Reload
	buffer_load_dword v1, off, s[60:63], 0 offset:88 ; 4-byte Folded Reload
	;; [unrolled: 1-line block ×4, first 2 shown]
	s_waitcnt vmcnt(0)
	ds_write_b128 v16, v[0:3] offset:80
	ds_write_b128 v16, v[188:191] offset:96
	buffer_load_dword v0, off, s[60:63], 0 offset:132 ; 4-byte Folded Reload
	buffer_load_dword v1, off, s[60:63], 0 offset:136 ; 4-byte Folded Reload
	buffer_load_dword v2, off, s[60:63], 0 offset:140 ; 4-byte Folded Reload
	buffer_load_dword v3, off, s[60:63], 0 offset:144 ; 4-byte Folded Reload
	s_waitcnt vmcnt(0)
	ds_write_b128 v16, v[0:3] offset:112
	buffer_load_dword v0, off, s[60:63], 0 offset:164 ; 4-byte Folded Reload
	buffer_load_dword v1, off, s[60:63], 0 offset:168 ; 4-byte Folded Reload
	buffer_load_dword v2, off, s[60:63], 0 offset:172 ; 4-byte Folded Reload
	buffer_load_dword v3, off, s[60:63], 0 offset:176 ; 4-byte Folded Reload
	s_waitcnt vmcnt(0)
	;; [unrolled: 6-line block ×10, first 2 shown]
	ds_write_b128 v16, v[0:3] offset:256
.LBB0_7:
	s_or_b64 exec, exec, s[26:27]
	s_waitcnt vmcnt(0) lgkmcnt(0)
	s_barrier
	ds_read_b128 v[24:27], v117
	ds_read_b128 v[36:39], v117 offset:1904
	ds_read_b128 v[40:43], v117 offset:3808
	;; [unrolled: 1-line block ×20, first 2 shown]
	buffer_load_dword v146, off, s[60:63], 0 ; 4-byte Folded Reload
	s_movk_i32 s0, 0xf1
	s_mov_b32 s13, 0xbfebb67a
	s_mov_b32 s16, 0xe976ee23
	;; [unrolled: 1-line block ×15, first 2 shown]
	s_add_u32 s4, s6, 0x1650
	s_addc_u32 s5, s7, 0
	s_waitcnt vmcnt(0)
	v_lshlrev_b32_e32 v60, 5, v146
	global_load_dwordx4 v[120:123], v60, s[2:3] offset:16
	global_load_dwordx4 v[124:127], v60, s[2:3]
	v_add_u16_e32 v72, 0x66, v146
	v_mul_lo_u16_sdwa v73, v72, s0 dst_sel:DWORD dst_unused:UNUSED_PAD src0_sel:BYTE_0 src1_sel:DWORD
	v_lshrrev_b16_e32 v73, 12, v73
	v_mul_lo_u16_e32 v73, 17, v73
	s_waitcnt vmcnt(0) lgkmcnt(14)
	v_mul_f64 v[60:61], v[38:39], v[126:127]
	v_fma_f64 v[83:84], v[36:37], v[124:125], -v[60:61]
	v_mul_f64 v[36:37], v[36:37], v[126:127]
	v_fma_f64 v[85:86], v[38:39], v[124:125], v[36:37]
	v_mul_f64 v[36:37], v[42:43], v[122:123]
	v_fma_f64 v[87:88], v[40:41], v[120:121], -v[36:37]
	v_mul_f64 v[36:37], v[40:41], v[122:123]
	v_fma_f64 v[103:104], v[42:43], v[120:121], v[36:37]
	;; [unrolled: 4-line block ×4, first 2 shown]
	v_add_u16_e32 v36, 34, v146
	v_mul_lo_u16_sdwa v37, v36, s0 dst_sel:DWORD dst_unused:UNUSED_PAD src0_sel:BYTE_0 src1_sel:DWORD
	v_lshrrev_b16_e32 v37, 12, v37
	v_mul_lo_u16_e32 v37, 17, v37
	v_sub_u16_e32 v89, v36, v37
	v_lshlrev_b16_e32 v36, 1, v89
	v_and_b32_e32 v36, 0xfe, v36
	v_lshlrev_b32_e32 v36, 4, v36
	global_load_dwordx4 v[140:143], v36, s[2:3] offset:16
	global_load_dwordx4 v[147:150], v36, s[2:3]
	s_waitcnt vmcnt(0) lgkmcnt(13)
	v_mul_f64 v[36:37], v[54:55], v[149:150]
	v_fma_f64 v[60:61], v[52:53], v[147:148], -v[36:37]
	v_mul_f64 v[36:37], v[52:53], v[149:150]
	v_fma_f64 v[62:63], v[54:55], v[147:148], v[36:37]
	s_waitcnt lgkmcnt(12)
	v_mul_f64 v[36:37], v[58:59], v[142:143]
	v_fma_f64 v[64:65], v[56:57], v[140:141], -v[36:37]
	v_mul_f64 v[36:37], v[56:57], v[142:143]
	v_fma_f64 v[68:69], v[58:59], v[140:141], v[36:37]
	v_add_u16_e32 v36, 51, v146
	v_mul_lo_u16_sdwa v37, v36, s0 dst_sel:DWORD dst_unused:UNUSED_PAD src0_sel:BYTE_0 src1_sel:DWORD
	v_lshrrev_b16_e32 v37, 12, v37
	v_mul_lo_u16_e32 v37, 17, v37
	v_sub_u16_e32 v90, v36, v37
	v_lshlrev_b16_e32 v36, 1, v90
	v_and_b32_e32 v36, 0xfe, v36
	v_lshlrev_b32_e32 v36, 4, v36
	global_load_dwordx4 v[151:154], v36, s[2:3] offset:16
	global_load_dwordx4 v[155:158], v36, s[2:3]
	s_waitcnt vmcnt(0) lgkmcnt(10)
	v_mul_f64 v[36:37], v[81:82], v[157:158]
	v_fma_f64 v[52:53], v[79:80], v[155:156], -v[36:37]
	v_mul_f64 v[36:37], v[79:80], v[157:158]
	v_fma_f64 v[54:55], v[81:82], v[155:156], v[36:37]
	s_waitcnt lgkmcnt(9)
	v_mul_f64 v[36:37], v[93:94], v[153:154]
	v_fma_f64 v[56:57], v[91:92], v[151:152], -v[36:37]
	v_mul_f64 v[36:37], v[91:92], v[153:154]
	v_fma_f64 v[58:59], v[93:94], v[151:152], v[36:37]
	v_add_u16_e32 v36, 0x44, v146
	v_mul_lo_u16_sdwa v37, v36, s0 dst_sel:DWORD dst_unused:UNUSED_PAD src0_sel:BYTE_0 src1_sel:DWORD
	v_lshrrev_b16_e32 v37, 12, v37
	v_mul_lo_u16_e32 v37, 17, v37
	v_sub_u16_e32 v91, v36, v37
	v_lshlrev_b16_e32 v36, 1, v91
	v_and_b32_e32 v36, 0xfe, v36
	v_lshlrev_b32_e32 v36, 4, v36
	global_load_dwordx4 v[168:171], v36, s[2:3] offset:16
	global_load_dwordx4 v[172:175], v36, s[2:3]
	v_sub_u16_e32 v93, v72, v73
	v_lshlrev_b16_e32 v72, 1, v93
	v_and_b32_e32 v72, 0xfe, v72
	v_lshlrev_b32_e32 v72, 4, v72
	s_waitcnt vmcnt(0) lgkmcnt(7)
	v_mul_f64 v[36:37], v[97:98], v[174:175]
	v_fma_f64 v[44:45], v[95:96], v[172:173], -v[36:37]
	v_mul_f64 v[36:37], v[95:96], v[174:175]
	v_fma_f64 v[46:47], v[97:98], v[172:173], v[36:37]
	s_waitcnt lgkmcnt(6)
	v_mul_f64 v[36:37], v[101:102], v[170:171]
	v_fma_f64 v[48:49], v[99:100], v[168:169], -v[36:37]
	v_mul_f64 v[36:37], v[99:100], v[170:171]
	v_fma_f64 v[50:51], v[101:102], v[168:169], v[36:37]
	v_add_u16_e32 v36, 0x55, v146
	v_mul_lo_u16_sdwa v37, v36, s0 dst_sel:DWORD dst_unused:UNUSED_PAD src0_sel:BYTE_0 src1_sel:DWORD
	v_lshrrev_b16_e32 v37, 12, v37
	v_mul_lo_u16_e32 v37, 17, v37
	v_sub_u16_e32 v92, v36, v37
	v_lshlrev_b16_e32 v36, 1, v92
	v_and_b32_e32 v36, 0xfe, v36
	v_lshlrev_b32_e32 v36, 4, v36
	global_load_dwordx4 v[176:179], v36, s[2:3] offset:16
	global_load_dwordx4 v[180:183], v36, s[2:3]
	s_mov_b32 s0, 0xe8584caa
	s_mov_b32 s1, 0x3febb67a
	;; [unrolled: 1-line block ×3, first 2 shown]
	s_waitcnt vmcnt(1) lgkmcnt(3)
	v_mul_f64 v[40:41], v[166:167], v[178:179]
	s_waitcnt vmcnt(0)
	v_mul_f64 v[38:39], v[160:161], v[182:183]
	v_mul_f64 v[42:43], v[164:165], v[178:179]
	;; [unrolled: 1-line block ×3, first 2 shown]
	v_fma_f64 v[40:41], v[164:165], v[176:177], -v[40:41]
	v_fma_f64 v[38:39], v[162:163], v[180:181], v[38:39]
	v_fma_f64 v[42:43], v[166:167], v[176:177], v[42:43]
	global_load_dwordx4 v[94:97], v72, s[2:3] offset:16
	global_load_dwordx4 v[163:166], v72, s[2:3]
	v_fma_f64 v[36:37], v[160:161], v[180:181], -v[36:37]
	s_waitcnt vmcnt(0) lgkmcnt(1)
	v_mul_f64 v[79:80], v[34:35], v[165:166]
	v_fma_f64 v[79:80], v[32:33], v[163:164], -v[79:80]
	v_mul_f64 v[32:33], v[32:33], v[165:166]
	v_fma_f64 v[105:106], v[34:35], v[163:164], v[32:33]
	s_waitcnt lgkmcnt(0)
	v_mul_f64 v[32:33], v[30:31], v[96:97]
	v_add_f64 v[34:35], v[85:86], v[103:104]
	v_fma_f64 v[81:82], v[28:29], v[94:95], -v[32:33]
	v_mul_f64 v[28:29], v[28:29], v[96:97]
	buffer_store_dword v94, off, s[60:63], 0 offset:584 ; 4-byte Folded Spill
	s_nop 0
	buffer_store_dword v95, off, s[60:63], 0 offset:588 ; 4-byte Folded Spill
	buffer_store_dword v96, off, s[60:63], 0 offset:592 ; 4-byte Folded Spill
	buffer_store_dword v97, off, s[60:63], 0 offset:596 ; 4-byte Folded Spill
	s_waitcnt vmcnt(0)
	s_barrier
	v_fma_f64 v[107:108], v[30:31], v[94:95], v[28:29]
	v_add_f64 v[30:31], v[83:84], v[87:88]
	v_add_f64 v[28:29], v[24:25], v[83:84]
	v_add_f64 v[83:84], v[83:84], -v[87:88]
	v_fma_f64 v[24:25], v[30:31], -0.5, v[24:25]
	v_add_f64 v[30:31], v[85:86], -v[103:104]
	v_add_f64 v[28:29], v[28:29], v[87:88]
	v_add_f64 v[87:88], v[70:71], -v[77:78]
	v_fma_f64 v[32:33], v[30:31], s[0:1], v[24:25]
	v_fma_f64 v[24:25], v[30:31], s[12:13], v[24:25]
	v_add_f64 v[30:31], v[26:27], v[85:86]
	v_add_f64 v[85:86], v[66:67], v[75:76]
	v_fma_f64 v[26:27], v[34:35], -0.5, v[26:27]
	v_add_f64 v[30:31], v[30:31], v[103:104]
	v_fma_f64 v[85:86], v[85:86], -0.5, v[20:21]
	v_fma_f64 v[34:35], v[83:84], s[12:13], v[26:27]
	v_fma_f64 v[26:27], v[83:84], s[0:1], v[26:27]
	v_add_f64 v[83:84], v[20:21], v[66:67]
	v_add_f64 v[66:67], v[66:67], -v[75:76]
	v_fma_f64 v[20:21], v[87:88], s[0:1], v[85:86]
	v_fma_f64 v[94:95], v[87:88], s[12:13], v[85:86]
	v_add_f64 v[85:86], v[22:23], v[70:71]
	v_add_f64 v[70:71], v[70:71], v[77:78]
	v_add_f64 v[83:84], v[83:84], v[75:76]
	v_add_f64 v[85:86], v[85:86], v[77:78]
	v_fma_f64 v[70:71], v[70:71], -0.5, v[22:23]
	v_fma_f64 v[22:23], v[66:67], s[12:13], v[70:71]
	v_fma_f64 v[96:97], v[66:67], s[0:1], v[70:71]
	v_add_f64 v[66:67], v[16:17], v[60:61]
	v_add_f64 v[70:71], v[62:63], -v[68:69]
	ds_write_b128 v117, v[28:31]
	ds_write_b128 v117, v[32:35] offset:272
	ds_write_b128 v117, v[24:27] offset:544
	ds_write_b128 v117, v[83:86] offset:816
	ds_write_b128 v117, v[20:23] offset:1088
	ds_write_b128 v117, v[94:97] offset:1360
	v_and_b32_e32 v20, 0xff, v89
	v_lshl_add_u32 v144, v20, 4, v109
	v_add_f64 v[75:76], v[66:67], v[64:65]
	v_add_f64 v[66:67], v[60:61], v[64:65]
	v_add_f64 v[60:61], v[60:61], -v[64:65]
	v_add_f64 v[64:65], v[54:55], -v[58:59]
	v_fma_f64 v[66:67], v[66:67], -0.5, v[16:17]
	v_fma_f64 v[16:17], v[70:71], s[0:1], v[66:67]
	v_fma_f64 v[66:67], v[70:71], s[12:13], v[66:67]
	v_add_f64 v[70:71], v[18:19], v[62:63]
	v_add_f64 v[62:63], v[62:63], v[68:69]
	v_add_f64 v[77:78], v[70:71], v[68:69]
	v_fma_f64 v[62:63], v[62:63], -0.5, v[18:19]
	v_fma_f64 v[18:19], v[60:61], s[12:13], v[62:63]
	v_fma_f64 v[68:69], v[60:61], s[0:1], v[62:63]
	v_add_f64 v[62:63], v[52:53], v[56:57]
	v_add_f64 v[60:61], v[12:13], v[52:53]
	v_add_f64 v[52:53], v[52:53], -v[56:57]
	ds_write_b128 v144, v[75:78] offset:1632
	ds_write_b128 v144, v[16:19] offset:1904
	;; [unrolled: 1-line block ×3, first 2 shown]
	v_and_b32_e32 v16, 0xff, v90
	v_lshl_add_u32 v74, v16, 4, v109
	v_fma_f64 v[62:63], v[62:63], -0.5, v[12:13]
	v_add_f64 v[60:61], v[60:61], v[56:57]
	v_add_f64 v[56:57], v[46:47], -v[50:51]
	v_fma_f64 v[12:13], v[64:65], s[0:1], v[62:63]
	v_fma_f64 v[98:99], v[64:65], s[12:13], v[62:63]
	v_add_f64 v[62:63], v[14:15], v[54:55]
	v_add_f64 v[54:55], v[54:55], v[58:59]
	v_add_f64 v[64:65], v[79:80], -v[81:82]
	v_add_f64 v[62:63], v[62:63], v[58:59]
	v_fma_f64 v[54:55], v[54:55], -0.5, v[14:15]
	v_fma_f64 v[14:15], v[52:53], s[12:13], v[54:55]
	v_fma_f64 v[100:101], v[52:53], s[0:1], v[54:55]
	v_add_f64 v[54:55], v[44:45], v[48:49]
	v_add_f64 v[52:53], v[8:9], v[44:45]
	v_add_f64 v[44:45], v[44:45], -v[48:49]
	ds_write_b128 v74, v[60:63] offset:2448
	ds_write_b128 v74, v[12:15] offset:2720
	;; [unrolled: 1-line block ×3, first 2 shown]
	v_and_b32_e32 v12, 0xff, v91
	v_lshl_add_u32 v167, v12, 4, v109
	v_fma_f64 v[54:55], v[54:55], -0.5, v[8:9]
	v_add_f64 v[52:53], v[52:53], v[48:49]
	v_add_f64 v[48:49], v[38:39], -v[42:43]
	v_fma_f64 v[8:9], v[56:57], s[0:1], v[54:55]
	v_fma_f64 v[56:57], v[56:57], s[12:13], v[54:55]
	v_add_f64 v[54:55], v[10:11], v[46:47]
	v_add_f64 v[46:47], v[46:47], v[50:51]
	v_add_f64 v[54:55], v[54:55], v[50:51]
	v_fma_f64 v[46:47], v[46:47], -0.5, v[10:11]
	v_fma_f64 v[10:11], v[44:45], s[12:13], v[46:47]
	v_fma_f64 v[58:59], v[44:45], s[0:1], v[46:47]
	v_add_f64 v[46:47], v[36:37], v[40:41]
	v_add_f64 v[44:45], v[4:5], v[36:37]
	v_add_f64 v[36:37], v[36:37], -v[40:41]
	ds_write_b128 v167, v[52:55] offset:3264
	ds_write_b128 v167, v[8:11] offset:3536
	;; [unrolled: 1-line block ×3, first 2 shown]
	v_mov_b32_e32 v53, s3
	v_mov_b32_e32 v52, s2
	v_fma_f64 v[46:47], v[46:47], -0.5, v[4:5]
	v_add_f64 v[44:45], v[44:45], v[40:41]
	v_add_f64 v[40:41], v[105:106], -v[107:108]
	v_and_b32_e32 v8, 0xff, v92
	v_lshl_add_u32 v243, v8, 4, v109
	s_mov_b32 s2, 0x37e14327
	s_mov_b32 s3, 0x3fe948f6
	v_fma_f64 v[4:5], v[48:49], s[0:1], v[46:47]
	v_fma_f64 v[48:49], v[48:49], s[12:13], v[46:47]
	v_add_f64 v[46:47], v[6:7], v[38:39]
	v_add_f64 v[38:39], v[38:39], v[42:43]
	;; [unrolled: 1-line block ×3, first 2 shown]
	v_fma_f64 v[38:39], v[38:39], -0.5, v[6:7]
	v_add_f64 v[42:43], v[105:106], v[107:108]
	v_fma_f64 v[6:7], v[36:37], s[12:13], v[38:39]
	v_fma_f64 v[50:51], v[36:37], s[0:1], v[38:39]
	v_add_f64 v[38:39], v[79:80], v[81:82]
	v_add_f64 v[36:37], v[0:1], v[79:80]
	v_fma_f64 v[42:43], v[42:43], -0.5, v[2:3]
	ds_write_b128 v243, v[44:47] offset:4080
	ds_write_b128 v243, v[4:7] offset:4352
	;; [unrolled: 1-line block ×3, first 2 shown]
	v_and_b32_e32 v4, 0xff, v93
	v_lshl_add_u32 v196, v4, 4, v109
	v_fma_f64 v[38:39], v[38:39], -0.5, v[0:1]
	v_add_f64 v[36:37], v[36:37], v[81:82]
	v_fma_f64 v[0:1], v[40:41], s[0:1], v[38:39]
	v_fma_f64 v[40:41], v[40:41], s[12:13], v[38:39]
	v_add_f64 v[38:39], v[2:3], v[105:106]
	v_fma_f64 v[2:3], v[64:65], s[12:13], v[42:43]
	v_fma_f64 v[42:43], v[64:65], s[0:1], v[42:43]
	s_movk_i32 s0, 0x60
	v_mad_u64_u32 v[103:104], s[0:1], v146, s0, v[52:53]
	s_mov_b32 s0, 0x36b3c0b5
	s_mov_b32 s12, 0x429ad128
	v_add_f64 v[38:39], v[38:39], v[107:108]
	ds_write_b128 v196, v[36:39] offset:4896
	ds_write_b128 v196, v[0:3] offset:5168
	;; [unrolled: 1-line block ×3, first 2 shown]
	s_waitcnt lgkmcnt(0)
	s_barrier
	ds_read_b128 v[8:11], v117
	ds_read_b128 v[36:39], v117 offset:816
	ds_read_b128 v[40:43], v117 offset:1632
	;; [unrolled: 1-line block ×20, first 2 shown]
	global_load_dwordx4 v[184:187], v[103:104], off offset:592
	global_load_dwordx4 v[236:239], v[103:104], off offset:576
	;; [unrolled: 1-line block ×4, first 2 shown]
	s_mov_b32 s1, 0x3fac98ee
	s_mov_b32 s13, 0x3febfeb5
	s_waitcnt vmcnt(0) lgkmcnt(14)
	v_mul_f64 v[52:53], v[38:39], v[214:215]
	v_fma_f64 v[54:55], v[36:37], v[212:213], -v[52:53]
	v_mul_f64 v[36:37], v[36:37], v[214:215]
	v_fma_f64 v[60:61], v[38:39], v[212:213], v[36:37]
	v_mul_f64 v[36:37], v[42:43], v[199:200]
	v_fma_f64 v[56:57], v[40:41], v[197:198], -v[36:37]
	v_mul_f64 v[36:37], v[40:41], v[199:200]
	global_load_dwordx4 v[208:211], v[103:104], off offset:624
	global_load_dwordx4 v[38:41], v[103:104], off offset:608
	v_fma_f64 v[62:63], v[42:43], v[197:198], v[36:37]
	v_mul_f64 v[36:37], v[46:47], v[238:239]
	v_fma_f64 v[58:59], v[44:45], v[236:237], -v[36:37]
	v_mul_f64 v[36:37], v[44:45], v[238:239]
	v_fma_f64 v[64:65], v[46:47], v[236:237], v[36:37]
	v_mul_f64 v[36:37], v[50:51], v[186:187]
	v_fma_f64 v[66:67], v[48:49], v[184:185], -v[36:37]
	v_mul_f64 v[36:37], v[48:49], v[186:187]
	v_fma_f64 v[68:69], v[50:51], v[184:185], v[36:37]
	s_waitcnt vmcnt(0)
	v_mul_f64 v[36:37], v[77:78], v[40:41]
	v_fma_f64 v[105:106], v[75:76], v[38:39], -v[36:37]
	v_mul_f64 v[36:37], v[75:76], v[40:41]
	buffer_store_dword v38, off, s[60:63], 0 offset:600 ; 4-byte Folded Spill
	s_nop 0
	buffer_store_dword v39, off, s[60:63], 0 offset:604 ; 4-byte Folded Spill
	buffer_store_dword v40, off, s[60:63], 0 offset:608 ; 4-byte Folded Spill
	;; [unrolled: 1-line block ×3, first 2 shown]
	global_load_dwordx4 v[216:219], v[103:104], off offset:2224
	global_load_dwordx4 v[220:223], v[103:104], off offset:2208
	;; [unrolled: 1-line block ×4, first 2 shown]
	v_fma_f64 v[107:108], v[77:78], v[38:39], v[36:37]
	v_mul_f64 v[36:37], v[81:82], v[210:211]
	global_load_dwordx4 v[232:235], v[103:104], off offset:2256
	global_load_dwordx4 v[75:78], v[103:104], off offset:2240
	v_fma_f64 v[109:110], v[79:80], v[208:209], -v[36:37]
	v_mul_f64 v[36:37], v[79:80], v[210:211]
	v_fma_f64 v[81:82], v[81:82], v[208:209], v[36:37]
	s_waitcnt vmcnt(2) lgkmcnt(12)
	v_mul_f64 v[36:37], v[85:86], v[246:247]
	v_fma_f64 v[38:39], v[83:84], v[244:245], -v[36:37]
	v_mul_f64 v[36:37], v[83:84], v[246:247]
	v_fma_f64 v[44:45], v[85:86], v[244:245], v[36:37]
	s_waitcnt lgkmcnt(11)
	v_mul_f64 v[36:37], v[89:90], v[226:227]
	v_fma_f64 v[40:41], v[87:88], v[224:225], -v[36:37]
	v_mul_f64 v[36:37], v[87:88], v[226:227]
	v_fma_f64 v[46:47], v[89:90], v[224:225], v[36:37]
	s_waitcnt lgkmcnt(10)
	;; [unrolled: 5-line block ×3, first 2 shown]
	v_mul_f64 v[36:37], v[97:98], v[218:219]
	v_fma_f64 v[50:51], v[95:96], v[216:217], -v[36:37]
	v_mul_f64 v[36:37], v[95:96], v[218:219]
	v_fma_f64 v[52:53], v[97:98], v[216:217], v[36:37]
	s_waitcnt vmcnt(0) lgkmcnt(8)
	v_mul_f64 v[36:37], v[101:102], v[77:78]
	v_fma_f64 v[70:71], v[99:100], v[75:76], -v[36:37]
	v_mul_f64 v[36:37], v[99:100], v[77:78]
	buffer_store_dword v75, off, s[60:63], 0 offset:520 ; 4-byte Folded Spill
	s_nop 0
	buffer_store_dword v76, off, s[60:63], 0 offset:524 ; 4-byte Folded Spill
	buffer_store_dword v77, off, s[60:63], 0 offset:528 ; 4-byte Folded Spill
	;; [unrolled: 1-line block ×3, first 2 shown]
	global_load_dwordx4 v[248:251], v[103:104], off offset:3856
	global_load_dwordx4 v[87:90], v[103:104], off offset:3840
	;; [unrolled: 1-line block ×4, first 2 shown]
	v_fma_f64 v[75:76], v[101:102], v[75:76], v[36:37]
	s_waitcnt lgkmcnt(7)
	v_mul_f64 v[36:37], v[206:207], v[234:235]
	v_fma_f64 v[77:78], v[204:205], v[232:233], -v[36:37]
	v_mul_f64 v[36:37], v[204:205], v[234:235]
	v_fma_f64 v[79:80], v[206:207], v[232:233], v[36:37]
	s_waitcnt vmcnt(0) lgkmcnt(5)
	v_mul_f64 v[36:37], v[34:35], v[85:86]
	v_fma_f64 v[36:37], v[32:33], v[83:84], -v[36:37]
	v_mul_f64 v[32:33], v[32:33], v[85:86]
	buffer_store_dword v83, off, s[60:63], 0 offset:536 ; 4-byte Folded Spill
	s_nop 0
	buffer_store_dword v84, off, s[60:63], 0 offset:540 ; 4-byte Folded Spill
	buffer_store_dword v85, off, s[60:63], 0 offset:544 ; 4-byte Folded Spill
	;; [unrolled: 1-line block ×3, first 2 shown]
	v_fma_f64 v[34:35], v[34:35], v[83:84], v[32:33]
	s_waitcnt lgkmcnt(4)
	v_mul_f64 v[32:33], v[30:31], v[161:162]
	v_fma_f64 v[32:33], v[28:29], v[159:160], -v[32:33]
	v_mul_f64 v[28:29], v[28:29], v[161:162]
	v_fma_f64 v[30:31], v[30:31], v[159:160], v[28:29]
	s_waitcnt lgkmcnt(3)
	v_mul_f64 v[28:29], v[26:27], v[89:90]
	v_fma_f64 v[28:29], v[24:25], v[87:88], -v[28:29]
	v_mul_f64 v[24:25], v[24:25], v[89:90]
	buffer_store_dword v87, off, s[60:63], 0 offset:616 ; 4-byte Folded Spill
	s_nop 0
	buffer_store_dword v88, off, s[60:63], 0 offset:620 ; 4-byte Folded Spill
	buffer_store_dword v89, off, s[60:63], 0 offset:624 ; 4-byte Folded Spill
	;; [unrolled: 1-line block ×3, first 2 shown]
	global_load_dwordx4 v[201:204], v[103:104], off offset:3888
	global_load_dwordx4 v[83:86], v[103:104], off offset:3872
	v_add_f64 v[89:90], v[64:65], v[68:69]
	v_add_f64 v[64:65], v[68:69], -v[64:65]
	v_fma_f64 v[24:25], v[26:27], v[87:88], v[24:25]
	s_waitcnt lgkmcnt(2)
	v_mul_f64 v[26:27], v[22:23], v[250:251]
	v_fma_f64 v[26:27], v[20:21], v[248:249], -v[26:27]
	v_mul_f64 v[20:21], v[20:21], v[250:251]
	v_fma_f64 v[20:21], v[22:23], v[248:249], v[20:21]
	s_waitcnt vmcnt(0) lgkmcnt(1)
	v_mul_f64 v[22:23], v[18:19], v[85:86]
	v_fma_f64 v[22:23], v[16:17], v[83:84], -v[22:23]
	v_mul_f64 v[16:17], v[16:17], v[85:86]
	buffer_store_dword v83, off, s[60:63], 0 offset:552 ; 4-byte Folded Spill
	s_nop 0
	buffer_store_dword v84, off, s[60:63], 0 offset:556 ; 4-byte Folded Spill
	buffer_store_dword v85, off, s[60:63], 0 offset:560 ; 4-byte Folded Spill
	buffer_store_dword v86, off, s[60:63], 0 offset:564 ; 4-byte Folded Spill
	v_fma_f64 v[83:84], v[18:19], v[83:84], v[16:17]
	s_waitcnt lgkmcnt(0)
	v_mul_f64 v[16:17], v[14:15], v[203:204]
	v_add_f64 v[18:19], v[60:61], -v[81:82]
	v_fma_f64 v[85:86], v[12:13], v[201:202], -v[16:17]
	v_mul_f64 v[12:13], v[12:13], v[203:204]
	v_add_f64 v[16:17], v[54:55], -v[109:110]
	v_fma_f64 v[87:88], v[14:15], v[201:202], v[12:13]
	v_add_f64 v[12:13], v[54:55], v[109:110]
	v_add_f64 v[14:15], v[60:61], v[81:82]
	;; [unrolled: 1-line block ×4, first 2 shown]
	v_add_f64 v[56:57], v[56:57], -v[105:106]
	v_add_f64 v[62:63], v[62:63], -v[107:108]
	v_add_f64 v[81:82], v[58:59], v[66:67]
	v_add_f64 v[58:59], v[66:67], -v[58:59]
	v_add_f64 v[66:67], v[54:55], v[12:13]
	v_add_f64 v[68:69], v[60:61], v[14:15]
	v_add_f64 v[91:92], v[54:55], -v[12:13]
	v_add_f64 v[93:94], v[60:61], -v[14:15]
	;; [unrolled: 1-line block ×6, first 2 shown]
	v_add_f64 v[95:96], v[58:59], v[56:57]
	v_add_f64 v[97:98], v[64:65], v[62:63]
	v_add_f64 v[99:100], v[58:59], -v[56:57]
	v_add_f64 v[101:102], v[64:65], -v[62:63]
	;; [unrolled: 1-line block ×4, first 2 shown]
	v_add_f64 v[66:67], v[81:82], v[66:67]
	v_add_f64 v[68:69], v[89:90], v[68:69]
	v_add_f64 v[58:59], v[16:17], -v[58:59]
	v_add_f64 v[64:65], v[18:19], -v[64:65]
	v_add_f64 v[16:17], v[95:96], v[16:17]
	v_add_f64 v[18:19], v[97:98], v[18:19]
	v_mul_f64 v[12:13], v[12:13], s[2:3]
	v_mul_f64 v[14:15], v[14:15], s[2:3]
	v_add_f64 v[8:9], v[8:9], v[66:67]
	v_add_f64 v[10:11], v[10:11], v[68:69]
	v_mul_f64 v[81:82], v[54:55], s[0:1]
	v_mul_f64 v[89:90], v[60:61], s[0:1]
	;; [unrolled: 1-line block ×6, first 2 shown]
	v_fma_f64 v[66:67], v[66:67], s[18:19], v[8:9]
	v_fma_f64 v[68:69], v[68:69], s[18:19], v[10:11]
	;; [unrolled: 1-line block ×4, first 2 shown]
	v_fma_f64 v[81:82], v[91:92], s[20:21], -v[81:82]
	v_fma_f64 v[89:90], v[93:94], s[20:21], -v[89:90]
	;; [unrolled: 1-line block ×4, first 2 shown]
	v_fma_f64 v[91:92], v[58:59], s[26:27], v[95:96]
	v_fma_f64 v[93:94], v[64:65], s[26:27], v[97:98]
	v_fma_f64 v[56:57], v[56:57], s[12:13], -v[95:96]
	v_fma_f64 v[62:63], v[62:63], s[12:13], -v[97:98]
	;; [unrolled: 1-line block ×4, first 2 shown]
	v_add_f64 v[95:96], v[54:55], v[66:67]
	v_add_f64 v[97:98], v[60:61], v[68:69]
	;; [unrolled: 1-line block ×6, first 2 shown]
	v_fma_f64 v[89:90], v[16:17], s[22:23], v[91:92]
	v_fma_f64 v[91:92], v[18:19], s[22:23], v[93:94]
	;; [unrolled: 1-line block ×6, first 2 shown]
	v_add_f64 v[14:15], v[97:98], -v[89:90]
	v_add_f64 v[12:13], v[91:92], v[95:96]
	v_add_f64 v[56:57], v[93:94], v[81:82]
	v_add_f64 v[54:55], v[60:61], -v[62:63]
	v_add_f64 v[18:19], v[68:69], -v[99:100]
	v_add_f64 v[16:17], v[64:65], v[66:67]
	v_add_f64 v[58:59], v[62:63], v[60:61]
	v_add_f64 v[60:61], v[81:82], -v[93:94]
	v_add_f64 v[62:63], v[66:67], -v[64:65]
	v_add_f64 v[64:65], v[99:100], v[68:69]
	v_add_f64 v[68:69], v[89:90], v[97:98]
	;; [unrolled: 1-line block ×4, first 2 shown]
	v_add_f64 v[38:39], v[38:39], -v[77:78]
	v_add_f64 v[44:45], v[44:45], -v[79:80]
	v_add_f64 v[77:78], v[40:41], v[70:71]
	v_add_f64 v[79:80], v[46:47], v[75:76]
	v_add_f64 v[40:41], v[40:41], -v[70:71]
	v_add_f64 v[46:47], v[46:47], -v[75:76]
	v_add_f64 v[70:71], v[42:43], v[50:51]
	v_add_f64 v[75:76], v[48:49], v[52:53]
	;; [unrolled: 4-line block ×3, first 2 shown]
	v_add_f64 v[66:67], v[95:96], -v[91:92]
	v_add_f64 v[91:92], v[77:78], -v[81:82]
	;; [unrolled: 1-line block ×7, first 2 shown]
	v_add_f64 v[95:96], v[42:43], v[40:41]
	v_add_f64 v[97:98], v[48:49], v[46:47]
	v_add_f64 v[99:100], v[42:43], -v[40:41]
	v_add_f64 v[101:102], v[48:49], -v[46:47]
	v_add_f64 v[40:41], v[40:41], -v[38:39]
	v_add_f64 v[46:47], v[46:47], -v[44:45]
	v_add_f64 v[50:51], v[70:71], v[50:51]
	v_add_f64 v[52:53], v[75:76], v[52:53]
	v_add_f64 v[42:43], v[38:39], -v[42:43]
	v_add_f64 v[48:49], v[44:45], -v[48:49]
	v_add_f64 v[38:39], v[95:96], v[38:39]
	v_add_f64 v[44:45], v[97:98], v[44:45]
	v_mul_f64 v[70:71], v[81:82], s[2:3]
	v_mul_f64 v[75:76], v[89:90], s[2:3]
	v_add_f64 v[4:5], v[4:5], v[50:51]
	v_add_f64 v[6:7], v[6:7], v[52:53]
	v_mul_f64 v[81:82], v[77:78], s[0:1]
	v_mul_f64 v[89:90], v[79:80], s[0:1]
	;; [unrolled: 1-line block ×6, first 2 shown]
	v_fma_f64 v[50:51], v[50:51], s[18:19], v[4:5]
	v_fma_f64 v[52:53], v[52:53], s[18:19], v[6:7]
	;; [unrolled: 1-line block ×4, first 2 shown]
	v_fma_f64 v[81:82], v[91:92], s[20:21], -v[81:82]
	v_fma_f64 v[89:90], v[93:94], s[20:21], -v[89:90]
	;; [unrolled: 1-line block ×4, first 2 shown]
	v_fma_f64 v[91:92], v[42:43], s[26:27], v[95:96]
	v_fma_f64 v[93:94], v[48:49], s[26:27], v[97:98]
	v_fma_f64 v[46:47], v[46:47], s[12:13], -v[97:98]
	v_fma_f64 v[42:43], v[42:43], s[28:29], -v[99:100]
	;; [unrolled: 1-line block ×4, first 2 shown]
	v_add_f64 v[95:96], v[77:78], v[50:51]
	v_add_f64 v[97:98], v[79:80], v[52:53]
	;; [unrolled: 1-line block ×6, first 2 shown]
	v_fma_f64 v[89:90], v[38:39], s[22:23], v[91:92]
	v_fma_f64 v[91:92], v[44:45], s[22:23], v[93:94]
	;; [unrolled: 1-line block ×6, first 2 shown]
	ds_write_b128 v117, v[8:11]
	ds_write_b128 v117, v[12:15] offset:816
	ds_write_b128 v117, v[16:19] offset:1632
	;; [unrolled: 1-line block ×7, first 2 shown]
	v_lshl_add_u32 v8, v111, 4, v119
	v_add_f64 v[40:41], v[97:98], -v[89:90]
	v_add_f64 v[38:39], v[91:92], v[95:96]
	v_add_f64 v[46:47], v[77:78], -v[50:51]
	v_add_f64 v[44:45], v[81:82], -v[93:94]
	v_add_f64 v[42:43], v[75:76], v[70:71]
	v_add_f64 v[50:51], v[50:51], v[77:78]
	v_add_f64 v[75:76], v[70:71], -v[75:76]
	v_add_f64 v[77:78], v[93:94], v[81:82]
	v_add_f64 v[81:82], v[89:90], v[97:98]
	v_add_f64 v[70:71], v[36:37], v[85:86]
	v_add_f64 v[89:90], v[34:35], v[87:88]
	v_add_f64 v[36:37], v[36:37], -v[85:86]
	v_add_f64 v[34:35], v[34:35], -v[87:88]
	v_add_f64 v[85:86], v[32:33], v[22:23]
	v_add_f64 v[87:88], v[30:31], v[83:84]
	v_add_f64 v[22:23], v[32:33], -v[22:23]
	v_add_f64 v[30:31], v[30:31], -v[83:84]
	v_add_f64 v[32:33], v[28:29], v[26:27]
	v_add_f64 v[83:84], v[24:25], v[20:21]
	;; [unrolled: 4-line block ×3, first 2 shown]
	v_add_f64 v[48:49], v[52:53], v[79:80]
	v_add_f64 v[52:53], v[79:80], -v[52:53]
	v_add_f64 v[79:80], v[95:96], -v[91:92]
	;; [unrolled: 1-line block ×8, first 2 shown]
	v_add_f64 v[95:96], v[26:27], v[22:23]
	v_add_f64 v[97:98], v[20:21], v[30:31]
	v_add_f64 v[99:100], v[26:27], -v[22:23]
	v_add_f64 v[101:102], v[20:21], -v[30:31]
	v_add_f64 v[24:25], v[32:33], v[24:25]
	v_add_f64 v[28:29], v[83:84], v[28:29]
	v_add_f64 v[26:27], v[36:37], -v[26:27]
	v_add_f64 v[20:21], v[34:35], -v[20:21]
	;; [unrolled: 1-line block ×4, first 2 shown]
	v_add_f64 v[32:33], v[95:96], v[36:37]
	v_add_f64 v[34:35], v[97:98], v[34:35]
	;; [unrolled: 1-line block ×4, first 2 shown]
	v_mul_f64 v[36:37], v[70:71], s[2:3]
	v_mul_f64 v[70:71], v[89:90], s[2:3]
	;; [unrolled: 1-line block ×8, first 2 shown]
	v_fma_f64 v[24:25], v[24:25], s[18:19], v[0:1]
	v_fma_f64 v[28:29], v[28:29], s[18:19], v[2:3]
	v_fma_f64 v[85:86], v[85:86], s[0:1], v[36:37]
	v_fma_f64 v[87:88], v[87:88], s[0:1], v[70:71]
	v_fma_f64 v[83:84], v[91:92], s[20:21], -v[83:84]
	v_fma_f64 v[89:90], v[93:94], s[20:21], -v[89:90]
	;; [unrolled: 1-line block ×4, first 2 shown]
	v_fma_f64 v[91:92], v[26:27], s[26:27], v[95:96]
	v_fma_f64 v[93:94], v[20:21], s[26:27], v[97:98]
	v_fma_f64 v[22:23], v[22:23], s[12:13], -v[95:96]
	v_fma_f64 v[30:31], v[30:31], s[12:13], -v[97:98]
	;; [unrolled: 1-line block ×4, first 2 shown]
	v_add_f64 v[87:88], v[87:88], v[28:29]
	v_add_f64 v[83:84], v[83:84], v[24:25]
	;; [unrolled: 1-line block ×4, first 2 shown]
	v_fma_f64 v[70:71], v[32:33], s[22:23], v[91:92]
	v_fma_f64 v[91:92], v[34:35], s[22:23], v[93:94]
	;; [unrolled: 1-line block ×4, first 2 shown]
	v_add_f64 v[85:86], v[85:86], v[24:25]
	v_add_f64 v[36:37], v[36:37], v[24:25]
	v_fma_f64 v[32:33], v[32:33], s[22:23], v[26:27]
	v_fma_f64 v[34:35], v[34:35], s[22:23], v[20:21]
	v_add_f64 v[22:23], v[87:88], -v[70:71]
	v_add_f64 v[230:231], v[70:71], v[87:88]
	v_add_f64 v[97:98], v[89:90], -v[93:94]
	v_add_f64 v[95:96], v[30:31], v[83:84]
	v_add_f64 v[20:21], v[91:92], v[85:86]
	v_add_f64 v[192:193], v[83:84], -v[30:31]
	v_add_f64 v[26:27], v[28:29], -v[32:33]
	v_add_f64 v[24:25], v[34:35], v[36:37]
	v_add_f64 v[194:195], v[93:94], v[89:90]
	ds_write_b128 v8, v[38:41] offset:1088
	ds_write_b128 v8, v[42:45] offset:1904
	;; [unrolled: 1-line block ×10, first 2 shown]
	buffer_store_dword v95, off, s[60:63], 0 offset:480 ; 4-byte Folded Spill
	s_nop 0
	buffer_store_dword v96, off, s[60:63], 0 offset:484 ; 4-byte Folded Spill
	buffer_store_dword v97, off, s[60:63], 0 offset:488 ; 4-byte Folded Spill
	;; [unrolled: 1-line block ×3, first 2 shown]
	v_add_f64 v[30:31], v[36:37], -v[34:35]
	v_add_f64 v[32:33], v[32:33], v[28:29]
	v_add_f64 v[228:229], v[85:86], -v[91:92]
	v_add_co_u32_e64 v0, s[0:1], s4, v119
	v_mov_b32_e32 v1, s5
	v_addc_co_u32_e64 v1, s[0:1], 0, v1, s[0:1]
	s_movk_i32 s0, 0x1000
	ds_write_b128 v8, v[95:98] offset:3808
	buffer_store_dword v30, off, s[60:63], 0 offset:568 ; 4-byte Folded Spill
	s_nop 0
	buffer_store_dword v31, off, s[60:63], 0 offset:572 ; 4-byte Folded Spill
	buffer_store_dword v32, off, s[60:63], 0 offset:576 ; 4-byte Folded Spill
	;; [unrolled: 1-line block ×3, first 2 shown]
	ds_write_b128 v8, v[30:33] offset:4624
	ds_write_b128 v8, v[228:231] offset:5440
	s_waitcnt vmcnt(0) lgkmcnt(0)
	s_barrier
	global_load_dwordx4 v[9:12], v119, s[4:5]
	ds_read_b128 v[2:5], v117
	s_waitcnt vmcnt(0) lgkmcnt(0)
	v_mul_f64 v[6:7], v[4:5], v[11:12]
	v_fma_f64 v[13:14], v[2:3], v[9:10], -v[6:7]
	v_mul_f64 v[2:3], v[2:3], v[11:12]
	v_fma_f64 v[15:16], v[4:5], v[9:10], v[2:3]
	global_load_dwordx4 v[9:12], v119, s[4:5] offset:336
	ds_read_b128 v[2:5], v117 offset:336
	ds_write_b128 v117, v[13:16]
	s_waitcnt vmcnt(0) lgkmcnt(1)
	v_mul_f64 v[6:7], v[4:5], v[11:12]
	v_fma_f64 v[13:14], v[2:3], v[9:10], -v[6:7]
	v_mul_f64 v[2:3], v[2:3], v[11:12]
	v_fma_f64 v[15:16], v[4:5], v[9:10], v[2:3]
	global_load_dwordx4 v[9:12], v119, s[4:5] offset:672
	ds_read_b128 v[2:5], v117 offset:672
	ds_write_b128 v117, v[13:16] offset:336
	s_waitcnt vmcnt(0) lgkmcnt(1)
	v_mul_f64 v[6:7], v[4:5], v[11:12]
	v_fma_f64 v[13:14], v[2:3], v[9:10], -v[6:7]
	v_mul_f64 v[2:3], v[2:3], v[11:12]
	v_fma_f64 v[15:16], v[4:5], v[9:10], v[2:3]
	global_load_dwordx4 v[9:12], v119, s[4:5] offset:1008
	ds_read_b128 v[2:5], v117 offset:1008
	ds_write_b128 v117, v[13:16] offset:672
	;; [unrolled: 8-line block ×11, first 2 shown]
	s_waitcnt vmcnt(0) lgkmcnt(1)
	v_mul_f64 v[6:7], v[4:5], v[11:12]
	v_fma_f64 v[13:14], v[2:3], v[9:10], -v[6:7]
	v_mul_f64 v[2:3], v[2:3], v[11:12]
	v_fma_f64 v[15:16], v[4:5], v[9:10], v[2:3]
	v_add_co_u32_e64 v2, s[0:1], s0, v0
	v_addc_co_u32_e64 v3, s[0:1], 0, v1, s[0:1]
	global_load_dwordx4 v[9:12], v[2:3], off offset:272
	ds_read_b128 v[4:7], v117 offset:4368
	ds_write_b128 v117, v[13:16] offset:4032
	s_waitcnt vmcnt(0) lgkmcnt(1)
	v_mul_f64 v[13:14], v[6:7], v[11:12]
	v_fma_f64 v[13:14], v[4:5], v[9:10], -v[13:14]
	v_mul_f64 v[4:5], v[4:5], v[11:12]
	v_fma_f64 v[15:16], v[6:7], v[9:10], v[4:5]
	global_load_dwordx4 v[9:12], v[2:3], off offset:608
	ds_read_b128 v[4:7], v117 offset:4704
	ds_write_b128 v117, v[13:16] offset:4368
	s_waitcnt vmcnt(0) lgkmcnt(1)
	v_mul_f64 v[13:14], v[6:7], v[11:12]
	v_fma_f64 v[13:14], v[4:5], v[9:10], -v[13:14]
	v_mul_f64 v[4:5], v[4:5], v[11:12]
	v_fma_f64 v[15:16], v[6:7], v[9:10], v[4:5]
	;; [unrolled: 8-line block ×4, first 2 shown]
	ds_write_b128 v117, v[13:16] offset:5376
	s_and_saveexec_b64 s[0:1], vcc
	s_cbranch_execz .LBB0_9
; %bb.8:
	global_load_dwordx4 v[9:12], v[0:1], off offset:272
	ds_read_b128 v[4:7], v117 offset:272
	s_waitcnt vmcnt(0) lgkmcnt(0)
	v_mul_f64 v[13:14], v[6:7], v[11:12]
	v_fma_f64 v[13:14], v[4:5], v[9:10], -v[13:14]
	v_mul_f64 v[4:5], v[4:5], v[11:12]
	v_fma_f64 v[15:16], v[6:7], v[9:10], v[4:5]
	global_load_dwordx4 v[9:12], v[0:1], off offset:608
	ds_read_b128 v[4:7], v117 offset:608
	ds_write_b128 v117, v[13:16] offset:272
	s_waitcnt vmcnt(0) lgkmcnt(1)
	v_mul_f64 v[13:14], v[6:7], v[11:12]
	v_fma_f64 v[13:14], v[4:5], v[9:10], -v[13:14]
	v_mul_f64 v[4:5], v[4:5], v[11:12]
	v_fma_f64 v[15:16], v[6:7], v[9:10], v[4:5]
	global_load_dwordx4 v[9:12], v[0:1], off offset:944
	ds_read_b128 v[4:7], v117 offset:944
	ds_write_b128 v117, v[13:16] offset:608
	;; [unrolled: 8-line block ×14, first 2 shown]
	s_waitcnt vmcnt(0) lgkmcnt(1)
	v_mul_f64 v[0:1], v[6:7], v[11:12]
	v_fma_f64 v[13:14], v[4:5], v[9:10], -v[0:1]
	v_mul_f64 v[0:1], v[4:5], v[11:12]
	v_fma_f64 v[15:16], v[6:7], v[9:10], v[0:1]
	v_mov_b32_e32 v0, 0x14c0
	v_lshl_or_b32 v0, v146, 4, v0
	global_load_dwordx4 v[9:12], v0, s[4:5]
	ds_read_b128 v[4:7], v117 offset:5312
	ds_write_b128 v117, v[13:16] offset:4976
	s_waitcnt vmcnt(0) lgkmcnt(1)
	v_mul_f64 v[0:1], v[6:7], v[11:12]
	v_fma_f64 v[13:14], v[4:5], v[9:10], -v[0:1]
	v_mul_f64 v[0:1], v[4:5], v[11:12]
	v_fma_f64 v[15:16], v[6:7], v[9:10], v[0:1]
	global_load_dwordx4 v[0:3], v[2:3], off offset:1552
	ds_read_b128 v[4:7], v117 offset:5648
	ds_write_b128 v117, v[13:16] offset:5312
	s_waitcnt vmcnt(0) lgkmcnt(1)
	v_mul_f64 v[9:10], v[6:7], v[2:3]
	v_mul_f64 v[2:3], v[4:5], v[2:3]
	v_fma_f64 v[9:10], v[4:5], v[0:1], -v[9:10]
	v_fma_f64 v[11:12], v[6:7], v[0:1], v[2:3]
	ds_write_b128 v117, v[9:12] offset:5648
.LBB0_9:
	s_or_b64 exec, exec, s[0:1]
	s_waitcnt lgkmcnt(0)
	s_barrier
	ds_read_b128 v[60:63], v117
	ds_read_b128 v[64:67], v117 offset:336
	ds_read_b128 v[52:55], v117 offset:672
	;; [unrolled: 1-line block ×16, first 2 shown]
	s_and_saveexec_b64 s[0:1], vcc
	s_cbranch_execz .LBB0_11
; %bb.10:
	buffer_load_dword v9, off, s[60:63], 0 offset:476 ; 4-byte Folded Reload
	s_waitcnt vmcnt(0)
	v_lshl_add_u32 v9, v146, 4, v9
	ds_read_b128 v[192:195], v117 offset:272
	ds_read_b128 v[75:78], v9 offset:608
	s_waitcnt lgkmcnt(0)
	buffer_store_dword v75, off, s[60:63], 0 offset:480 ; 4-byte Folded Spill
	s_nop 0
	buffer_store_dword v76, off, s[60:63], 0 offset:484 ; 4-byte Folded Spill
	buffer_store_dword v77, off, s[60:63], 0 offset:488 ; 4-byte Folded Spill
	buffer_store_dword v78, off, s[60:63], 0 offset:492 ; 4-byte Folded Spill
	ds_read_b128 v[75:78], v9 offset:944
	s_waitcnt lgkmcnt(0)
	buffer_store_dword v75, off, s[60:63], 0 offset:568 ; 4-byte Folded Spill
	s_nop 0
	buffer_store_dword v76, off, s[60:63], 0 offset:572 ; 4-byte Folded Spill
	buffer_store_dword v77, off, s[60:63], 0 offset:576 ; 4-byte Folded Spill
	buffer_store_dword v78, off, s[60:63], 0 offset:580 ; 4-byte Folded Spill
	ds_read_b128 v[228:231], v9 offset:1280
	ds_read_b128 v[75:78], v9 offset:1616
	s_waitcnt lgkmcnt(0)
	buffer_store_dword v75, off, s[60:63], 0 offset:52 ; 4-byte Folded Spill
	s_nop 0
	buffer_store_dword v76, off, s[60:63], 0 offset:56 ; 4-byte Folded Spill
	buffer_store_dword v77, off, s[60:63], 0 offset:60 ; 4-byte Folded Spill
	buffer_store_dword v78, off, s[60:63], 0 offset:64 ; 4-byte Folded Spill
	ds_read_b128 v[75:78], v9 offset:1952
	s_waitcnt lgkmcnt(0)
	buffer_store_dword v75, off, s[60:63], 0 offset:84 ; 4-byte Folded Spill
	s_nop 0
	buffer_store_dword v76, off, s[60:63], 0 offset:88 ; 4-byte Folded Spill
	buffer_store_dword v77, off, s[60:63], 0 offset:92 ; 4-byte Folded Spill
	buffer_store_dword v78, off, s[60:63], 0 offset:96 ; 4-byte Folded Spill
	;; [unrolled: 15-line block ×3, first 2 shown]
	ds_read_b128 v[75:78], v9 offset:3296
	s_waitcnt lgkmcnt(0)
	buffer_store_dword v75, off, s[60:63], 0 offset:180 ; 4-byte Folded Spill
	s_nop 0
	buffer_store_dword v76, off, s[60:63], 0 offset:184 ; 4-byte Folded Spill
	buffer_store_dword v77, off, s[60:63], 0 offset:188 ; 4-byte Folded Spill
	buffer_store_dword v78, off, s[60:63], 0 offset:192 ; 4-byte Folded Spill
	ds_read_b128 v[75:78], v9 offset:3632
	s_waitcnt lgkmcnt(0)
	buffer_store_dword v75, off, s[60:63], 0 offset:148 ; 4-byte Folded Spill
	s_nop 0
	buffer_store_dword v76, off, s[60:63], 0 offset:152 ; 4-byte Folded Spill
	buffer_store_dword v77, off, s[60:63], 0 offset:156 ; 4-byte Folded Spill
	buffer_store_dword v78, off, s[60:63], 0 offset:160 ; 4-byte Folded Spill
	;; [unrolled: 7-line block ×8, first 2 shown]
.LBB0_11:
	s_or_b64 exec, exec, s[0:1]
	v_add_u32_e32 v205, 0x110, v8
	v_add_u32_e32 v119, 0x220, v8
	s_waitcnt lgkmcnt(14)
	v_add_f64 v[8:9], v[60:61], v[64:65]
	v_add_f64 v[10:11], v[62:63], v[66:67]
	s_waitcnt lgkmcnt(0)
	v_add_f64 v[109:110], v[66:67], -v[70:71]
	s_mov_b32 s0, 0x5d8e7cdc
	s_mov_b32 s1, 0xbfd71e95
	v_add_f64 v[103:104], v[64:65], v[68:69]
	s_mov_b32 s2, 0x370991
	s_mov_b32 s3, 0x3fedd6d0
	v_add_f64 v[8:9], v[8:9], v[52:53]
	v_add_f64 v[10:11], v[10:11], v[54:55]
	;; [unrolled: 1-line block ×3, first 2 shown]
	v_add_f64 v[107:108], v[64:65], -v[68:69]
	s_mov_b32 s12, 0x2a9d6da3
	s_mov_b32 s13, 0xbfe58eea
	s_mov_b32 s4, 0x75d4884
	s_mov_b32 s35, 0x3fd71e95
	v_add_f64 v[8:9], v[8:9], v[44:45]
	v_add_f64 v[10:11], v[10:11], v[46:47]
	s_mov_b32 s34, s0
	s_mov_b32 s5, 0x3fe7a5f6
	s_mov_b32 s18, 0x7c9e640b
	s_mov_b32 s19, 0xbfeca52d
	s_mov_b32 s16, 0x2b2883cd
	s_mov_b32 s46, s12
	v_add_f64 v[8:9], v[8:9], v[36:37]
	v_add_f64 v[10:11], v[10:11], v[38:39]
	s_mov_b32 s17, 0x3fdc86fa
	s_mov_b32 s22, 0xeb564b22
	;; [unrolled: 8-line block ×3, first 2 shown]
	s_mov_b32 s27, 0xbfeec746
	s_mov_b32 s24, 0xc61f0d01
	;; [unrolled: 1-line block ×4, first 2 shown]
	v_add_f64 v[8:9], v[8:9], v[20:21]
	v_add_f64 v[10:11], v[10:11], v[22:23]
	s_mov_b32 s25, 0xbfd183b1
	v_mul_f64 v[111:112], v[105:106], s[24:25]
	s_mov_b32 s30, 0x6c9a05f6
	s_mov_b32 s42, 0x4363dd80
	;; [unrolled: 1-line block ×4, first 2 shown]
	v_add_f64 v[8:9], v[8:9], v[12:13]
	v_add_f64 v[10:11], v[10:11], v[14:15]
	s_mov_b32 s44, s26
	s_mov_b32 s31, 0xbfe9895b
	;; [unrolled: 1-line block ×4, first 2 shown]
	v_fma_f64 v[99:100], v[107:108], s[44:45], v[111:112]
	v_mul_f64 v[128:129], v[109:110], s[42:43]
	v_add_f64 v[8:9], v[8:9], v[0:1]
	v_add_f64 v[10:11], v[10:11], v[2:3]
	s_mov_b32 s28, 0x6ed5f1bb
	s_mov_b32 s38, 0x910ea3b9
	;; [unrolled: 1-line block ×6, first 2 shown]
	v_add_f64 v[8:9], v[8:9], v[4:5]
	v_add_f64 v[10:11], v[10:11], v[6:7]
	v_mul_f64 v[115:116], v[105:106], s[28:29]
	v_fma_f64 v[130:131], v[103:104], s[38:39], v[128:129]
	v_mul_f64 v[132:133], v[105:106], s[38:39]
	v_fma_f64 v[128:129], v[103:104], s[38:39], -v[128:129]
	s_mov_b32 s56, s30
	s_mov_b32 s51, 0x3fe0d888
	v_add_f64 v[8:9], v[8:9], v[16:17]
	v_add_f64 v[10:11], v[10:11], v[18:19]
	s_mov_b32 s50, s42
	s_mov_b32 s55, 0x3fc7851a
	;; [unrolled: 1-line block ×3, first 2 shown]
	v_fma_f64 v[72:73], v[107:108], s[56:57], v[115:116]
	v_fma_f64 v[115:116], v[107:108], s[30:31], v[115:116]
	v_add_f64 v[130:131], v[60:61], v[130:131]
	v_add_f64 v[8:9], v[8:9], v[24:25]
	;; [unrolled: 1-line block ×3, first 2 shown]
	v_fma_f64 v[134:135], v[107:108], s[50:51], v[132:133]
	v_add_f64 v[128:129], v[60:61], v[128:129]
	v_fma_f64 v[132:133], v[107:108], s[42:43], v[132:133]
	v_add_f64 v[99:100], v[62:63], v[99:100]
	v_add_f64 v[72:73], v[62:63], v[72:73]
	;; [unrolled: 1-line block ×15, first 2 shown]
	buffer_store_dword v8, off, s[60:63], 0 offset:632 ; 4-byte Folded Spill
	s_nop 0
	buffer_store_dword v9, off, s[60:63], 0 offset:636 ; 4-byte Folded Spill
	buffer_store_dword v10, off, s[60:63], 0 offset:640 ; 4-byte Folded Spill
	;; [unrolled: 1-line block ×3, first 2 shown]
	v_mul_f64 v[8:9], v[109:110], s[0:1]
	s_waitcnt vmcnt(0)
	s_barrier
	v_fma_f64 v[10:11], v[103:104], s[2:3], v[8:9]
	v_fma_f64 v[8:9], v[103:104], s[2:3], -v[8:9]
	v_add_f64 v[75:76], v[60:61], v[10:11]
	v_mul_f64 v[10:11], v[105:106], s[2:3]
	v_add_f64 v[66:67], v[60:61], v[8:9]
	v_fma_f64 v[8:9], v[107:108], s[0:1], v[10:11]
	v_fma_f64 v[64:65], v[107:108], s[34:35], v[10:11]
	v_add_f64 v[68:69], v[62:63], v[8:9]
	v_mul_f64 v[8:9], v[109:110], s[12:13]
	v_add_f64 v[64:65], v[62:63], v[64:65]
	v_fma_f64 v[10:11], v[103:104], s[4:5], v[8:9]
	v_fma_f64 v[8:9], v[103:104], s[4:5], -v[8:9]
	v_add_f64 v[70:71], v[60:61], v[10:11]
	v_mul_f64 v[10:11], v[105:106], s[4:5]
	v_add_f64 v[85:86], v[60:61], v[8:9]
	v_fma_f64 v[8:9], v[107:108], s[12:13], v[10:11]
	v_fma_f64 v[77:78], v[107:108], s[46:47], v[10:11]
	v_add_f64 v[87:88], v[62:63], v[8:9]
	v_mul_f64 v[8:9], v[109:110], s[18:19]
	v_add_f64 v[83:84], v[62:63], v[77:78]
	v_fma_f64 v[10:11], v[103:104], s[16:17], v[8:9]
	v_fma_f64 v[8:9], v[103:104], s[16:17], -v[8:9]
	v_add_f64 v[89:90], v[60:61], v[10:11]
	v_mul_f64 v[10:11], v[105:106], s[16:17]
	v_add_f64 v[79:80], v[60:61], v[8:9]
	v_fma_f64 v[8:9], v[107:108], s[18:19], v[10:11]
	v_fma_f64 v[77:78], v[107:108], s[36:37], v[10:11]
	v_add_f64 v[81:82], v[62:63], v[8:9]
	v_mul_f64 v[8:9], v[109:110], s[22:23]
	v_add_f64 v[77:78], v[62:63], v[77:78]
	v_fma_f64 v[10:11], v[103:104], s[20:21], v[8:9]
	v_fma_f64 v[8:9], v[103:104], s[20:21], -v[8:9]
	v_add_f64 v[91:92], v[60:61], v[10:11]
	v_mul_f64 v[10:11], v[105:106], s[20:21]
	v_add_f64 v[95:96], v[60:61], v[8:9]
	v_mul_f64 v[105:106], v[105:106], s[40:41]
	v_fma_f64 v[8:9], v[107:108], s[22:23], v[10:11]
	v_fma_f64 v[93:94], v[107:108], s[52:53], v[10:11]
	v_fma_f64 v[138:139], v[107:108], s[54:55], v[105:106]
	v_add_f64 v[97:98], v[62:63], v[8:9]
	v_mul_f64 v[8:9], v[109:110], s[26:27]
	v_add_f64 v[93:94], v[62:63], v[93:94]
	v_add_f64 v[138:139], v[62:63], v[138:139]
	v_fma_f64 v[10:11], v[103:104], s[24:25], v[8:9]
	v_fma_f64 v[8:9], v[103:104], s[24:25], -v[8:9]
	v_add_f64 v[10:11], v[60:61], v[10:11]
	v_add_f64 v[101:102], v[60:61], v[8:9]
	v_fma_f64 v[8:9], v[107:108], s[26:27], v[111:112]
	v_mul_f64 v[111:112], v[109:110], s[30:31]
	v_mul_f64 v[109:110], v[109:110], s[48:49]
	v_add_f64 v[8:9], v[62:63], v[8:9]
	v_fma_f64 v[113:114], v[103:104], s[28:29], v[111:112]
	v_fma_f64 v[111:112], v[103:104], s[28:29], -v[111:112]
	v_fma_f64 v[136:137], v[103:104], s[40:41], v[109:110]
	v_fma_f64 v[103:104], v[103:104], s[40:41], -v[109:110]
	v_add_f64 v[113:114], v[60:61], v[113:114]
	v_add_f64 v[111:112], v[60:61], v[111:112]
	;; [unrolled: 1-line block ×4, first 2 shown]
	v_fma_f64 v[103:104], v[107:108], s[48:49], v[105:106]
	v_add_f64 v[105:106], v[54:55], v[58:59]
	v_add_f64 v[54:55], v[54:55], -v[58:59]
	v_add_f64 v[62:63], v[62:63], v[103:104]
	v_add_f64 v[103:104], v[52:53], v[56:57]
	v_add_f64 v[52:53], v[52:53], -v[56:57]
	v_mul_f64 v[56:57], v[54:55], s[12:13]
	v_fma_f64 v[58:59], v[103:104], s[4:5], v[56:57]
	v_fma_f64 v[56:57], v[103:104], s[4:5], -v[56:57]
	v_add_f64 v[58:59], v[58:59], v[75:76]
	v_mul_f64 v[75:76], v[105:106], s[4:5]
	v_add_f64 v[56:57], v[56:57], v[66:67]
	v_fma_f64 v[66:67], v[52:53], s[12:13], v[75:76]
	v_fma_f64 v[107:108], v[52:53], s[46:47], v[75:76]
	v_add_f64 v[66:67], v[66:67], v[68:69]
	v_mul_f64 v[68:69], v[54:55], s[22:23]
	v_add_f64 v[64:65], v[107:108], v[64:65]
	v_fma_f64 v[75:76], v[103:104], s[20:21], v[68:69]
	v_fma_f64 v[68:69], v[103:104], s[20:21], -v[68:69]
	v_add_f64 v[70:71], v[75:76], v[70:71]
	v_mul_f64 v[75:76], v[105:106], s[20:21]
	v_add_f64 v[68:69], v[68:69], v[85:86]
	v_mul_f64 v[85:86], v[54:55], s[30:31]
	v_fma_f64 v[107:108], v[52:53], s[52:53], v[75:76]
	v_fma_f64 v[75:76], v[52:53], s[22:23], v[75:76]
	v_add_f64 v[83:84], v[107:108], v[83:84]
	v_add_f64 v[75:76], v[75:76], v[87:88]
	v_fma_f64 v[87:88], v[103:104], s[28:29], v[85:86]
	v_fma_f64 v[85:86], v[103:104], s[28:29], -v[85:86]
	v_add_f64 v[87:88], v[87:88], v[89:90]
	v_mul_f64 v[89:90], v[105:106], s[28:29]
	v_add_f64 v[79:80], v[85:86], v[79:80]
	v_fma_f64 v[85:86], v[52:53], s[30:31], v[89:90]
	v_fma_f64 v[107:108], v[52:53], s[56:57], v[89:90]
	v_add_f64 v[81:82], v[85:86], v[81:82]
	v_mul_f64 v[85:86], v[54:55], s[48:49]
	v_add_f64 v[77:78], v[107:108], v[77:78]
	v_fma_f64 v[89:90], v[103:104], s[40:41], v[85:86]
	v_fma_f64 v[85:86], v[103:104], s[40:41], -v[85:86]
	v_add_f64 v[89:90], v[89:90], v[91:92]
	v_mul_f64 v[91:92], v[105:106], s[40:41]
	v_add_f64 v[85:86], v[85:86], v[95:96]
	v_mul_f64 v[95:96], v[54:55], s[50:51]
	v_fma_f64 v[107:108], v[52:53], s[54:55], v[91:92]
	v_fma_f64 v[91:92], v[52:53], s[48:49], v[91:92]
	v_add_f64 v[93:94], v[107:108], v[93:94]
	v_add_f64 v[91:92], v[91:92], v[97:98]
	v_fma_f64 v[97:98], v[103:104], s[38:39], v[95:96]
	v_fma_f64 v[95:96], v[103:104], s[38:39], -v[95:96]
	v_add_f64 v[10:11], v[97:98], v[10:11]
	v_mul_f64 v[97:98], v[105:106], s[38:39]
	v_add_f64 v[95:96], v[95:96], v[101:102]
	v_fma_f64 v[107:108], v[52:53], s[42:43], v[97:98]
	v_fma_f64 v[97:98], v[52:53], s[50:51], v[97:98]
	v_add_f64 v[99:100], v[107:108], v[99:100]
	v_mul_f64 v[107:108], v[105:106], s[24:25]
	v_add_f64 v[8:9], v[97:98], v[8:9]
	v_mul_f64 v[97:98], v[54:55], s[44:45]
	v_fma_f64 v[109:110], v[52:53], s[26:27], v[107:108]
	v_fma_f64 v[107:108], v[52:53], s[44:45], v[107:108]
	;; [unrolled: 1-line block ×3, first 2 shown]
	v_fma_f64 v[97:98], v[103:104], s[24:25], -v[97:98]
	v_add_f64 v[72:73], v[109:110], v[72:73]
	v_mul_f64 v[109:110], v[54:55], s[36:37]
	v_add_f64 v[101:102], v[101:102], v[113:114]
	v_add_f64 v[97:98], v[97:98], v[111:112]
	v_mul_f64 v[113:114], v[105:106], s[16:17]
	v_mul_f64 v[105:106], v[105:106], s[2:3]
	v_add_f64 v[107:108], v[107:108], v[115:116]
	v_mul_f64 v[54:55], v[54:55], s[34:35]
	v_fma_f64 v[111:112], v[103:104], s[16:17], v[109:110]
	v_fma_f64 v[109:110], v[103:104], s[16:17], -v[109:110]
	v_fma_f64 v[115:116], v[52:53], s[18:19], v[113:114]
	v_fma_f64 v[113:114], v[52:53], s[36:37], v[113:114]
	v_add_f64 v[111:112], v[111:112], v[130:131]
	v_fma_f64 v[130:131], v[52:53], s[0:1], v[105:106]
	v_fma_f64 v[52:53], v[52:53], s[34:35], v[105:106]
	v_add_f64 v[109:110], v[109:110], v[128:129]
	v_fma_f64 v[128:129], v[103:104], s[2:3], v[54:55]
	v_fma_f64 v[54:55], v[103:104], s[2:3], -v[54:55]
	v_add_f64 v[113:114], v[113:114], v[132:133]
	v_add_f64 v[115:116], v[115:116], v[134:135]
	;; [unrolled: 1-line block ×5, first 2 shown]
	v_add_f64 v[46:47], v[46:47], -v[50:51]
	v_add_f64 v[54:55], v[54:55], v[60:61]
	v_add_f64 v[60:61], v[44:45], v[48:49]
	v_add_f64 v[44:45], v[44:45], -v[48:49]
	v_add_f64 v[128:129], v[128:129], v[136:137]
	v_mul_f64 v[105:106], v[62:63], s[20:21]
	v_mul_f64 v[48:49], v[46:47], s[18:19]
	v_fma_f64 v[50:51], v[60:61], s[16:17], v[48:49]
	v_fma_f64 v[48:49], v[60:61], s[16:17], -v[48:49]
	v_add_f64 v[50:51], v[50:51], v[58:59]
	v_mul_f64 v[58:59], v[62:63], s[16:17]
	v_add_f64 v[48:49], v[48:49], v[56:57]
	v_fma_f64 v[103:104], v[44:45], s[36:37], v[58:59]
	v_fma_f64 v[56:57], v[44:45], s[18:19], v[58:59]
	v_mul_f64 v[58:59], v[46:47], s[30:31]
	v_add_f64 v[64:65], v[103:104], v[64:65]
	v_add_f64 v[56:57], v[56:57], v[66:67]
	v_fma_f64 v[66:67], v[60:61], s[28:29], v[58:59]
	v_fma_f64 v[58:59], v[60:61], s[28:29], -v[58:59]
	v_add_f64 v[66:67], v[66:67], v[70:71]
	v_mul_f64 v[70:71], v[62:63], s[28:29]
	v_add_f64 v[58:59], v[58:59], v[68:69]
	v_fma_f64 v[103:104], v[44:45], s[56:57], v[70:71]
	v_fma_f64 v[68:69], v[44:45], s[30:31], v[70:71]
	v_mul_f64 v[70:71], v[46:47], s[54:55]
	v_add_f64 v[83:84], v[103:104], v[83:84]
	v_add_f64 v[68:69], v[68:69], v[75:76]
	v_fma_f64 v[75:76], v[60:61], s[40:41], v[70:71]
	v_fma_f64 v[70:71], v[60:61], s[40:41], -v[70:71]
	v_add_f64 v[75:76], v[75:76], v[87:88]
	v_mul_f64 v[87:88], v[62:63], s[40:41]
	v_add_f64 v[70:71], v[70:71], v[79:80]
	v_fma_f64 v[79:80], v[44:45], s[54:55], v[87:88]
	v_fma_f64 v[103:104], v[44:45], s[48:49], v[87:88]
	v_add_f64 v[79:80], v[79:80], v[81:82]
	v_mul_f64 v[81:82], v[46:47], s[44:45]
	v_add_f64 v[77:78], v[103:104], v[77:78]
	v_fma_f64 v[87:88], v[60:61], s[24:25], v[81:82]
	v_fma_f64 v[81:82], v[60:61], s[24:25], -v[81:82]
	v_add_f64 v[87:88], v[87:88], v[89:90]
	v_mul_f64 v[89:90], v[62:63], s[24:25]
	v_add_f64 v[81:82], v[81:82], v[85:86]
	v_fma_f64 v[103:104], v[44:45], s[26:27], v[89:90]
	v_fma_f64 v[85:86], v[44:45], s[44:45], v[89:90]
	v_mul_f64 v[89:90], v[46:47], s[46:47]
	v_add_f64 v[93:94], v[103:104], v[93:94]
	v_add_f64 v[85:86], v[85:86], v[91:92]
	v_fma_f64 v[91:92], v[60:61], s[4:5], v[89:90]
	v_fma_f64 v[89:90], v[60:61], s[4:5], -v[89:90]
	v_add_f64 v[10:11], v[91:92], v[10:11]
	v_mul_f64 v[91:92], v[62:63], s[4:5]
	v_add_f64 v[89:90], v[89:90], v[95:96]
	v_fma_f64 v[103:104], v[44:45], s[12:13], v[91:92]
	v_fma_f64 v[91:92], v[44:45], s[46:47], v[91:92]
	v_add_f64 v[99:100], v[103:104], v[99:100]
	v_add_f64 v[8:9], v[91:92], v[8:9]
	v_mul_f64 v[91:92], v[46:47], s[0:1]
	v_fma_f64 v[95:96], v[60:61], s[2:3], v[91:92]
	v_fma_f64 v[91:92], v[60:61], s[2:3], -v[91:92]
	v_add_f64 v[95:96], v[95:96], v[101:102]
	v_mul_f64 v[101:102], v[62:63], s[2:3]
	v_add_f64 v[91:92], v[91:92], v[97:98]
	v_mul_f64 v[62:63], v[62:63], s[38:39]
	v_fma_f64 v[103:104], v[44:45], s[34:35], v[101:102]
	v_fma_f64 v[97:98], v[44:45], s[0:1], v[101:102]
	v_mul_f64 v[101:102], v[46:47], s[22:23]
	v_mul_f64 v[46:47], v[46:47], s[42:43]
	v_add_f64 v[72:73], v[103:104], v[72:73]
	v_add_f64 v[97:98], v[97:98], v[107:108]
	v_fma_f64 v[103:104], v[60:61], s[20:21], v[101:102]
	v_fma_f64 v[101:102], v[60:61], s[20:21], -v[101:102]
	v_fma_f64 v[107:108], v[44:45], s[52:53], v[105:106]
	v_fma_f64 v[105:106], v[44:45], s[22:23], v[105:106]
	v_add_f64 v[103:104], v[103:104], v[111:112]
	v_add_f64 v[101:102], v[101:102], v[109:110]
	v_fma_f64 v[109:110], v[60:61], s[38:39], v[46:47]
	v_fma_f64 v[46:47], v[60:61], s[38:39], -v[46:47]
	v_fma_f64 v[111:112], v[44:45], s[50:51], v[62:63]
	v_fma_f64 v[44:45], v[44:45], s[42:43], v[62:63]
	v_add_f64 v[105:106], v[105:106], v[113:114]
	v_add_f64 v[107:108], v[107:108], v[115:116]
	;; [unrolled: 1-line block ×5, first 2 shown]
	v_add_f64 v[38:39], v[38:39], -v[42:43]
	v_add_f64 v[44:45], v[44:45], v[52:53]
	v_add_f64 v[52:53], v[36:37], v[40:41]
	v_add_f64 v[36:37], v[36:37], -v[40:41]
	v_add_f64 v[111:112], v[111:112], v[130:131]
	v_mul_f64 v[62:63], v[54:55], s[40:41]
	v_mul_f64 v[40:41], v[38:39], s[22:23]
	v_fma_f64 v[42:43], v[52:53], s[20:21], v[40:41]
	v_fma_f64 v[40:41], v[52:53], s[20:21], -v[40:41]
	v_add_f64 v[42:43], v[42:43], v[50:51]
	v_mul_f64 v[50:51], v[54:55], s[20:21]
	v_add_f64 v[40:41], v[40:41], v[48:49]
	v_fma_f64 v[60:61], v[36:37], s[52:53], v[50:51]
	v_fma_f64 v[48:49], v[36:37], s[22:23], v[50:51]
	v_mul_f64 v[50:51], v[38:39], s[48:49]
	v_add_f64 v[60:61], v[60:61], v[64:65]
	v_add_f64 v[48:49], v[48:49], v[56:57]
	v_fma_f64 v[56:57], v[52:53], s[40:41], v[50:51]
	v_fma_f64 v[50:51], v[52:53], s[40:41], -v[50:51]
	v_fma_f64 v[64:65], v[36:37], s[54:55], v[62:63]
	v_add_f64 v[56:57], v[56:57], v[66:67]
	v_add_f64 v[50:51], v[50:51], v[58:59]
	v_fma_f64 v[58:59], v[36:37], s[48:49], v[62:63]
	v_mul_f64 v[62:63], v[38:39], s[44:45]
	v_add_f64 v[64:65], v[64:65], v[83:84]
	v_add_f64 v[58:59], v[58:59], v[68:69]
	v_fma_f64 v[66:67], v[52:53], s[24:25], v[62:63]
	v_mul_f64 v[68:69], v[54:55], s[24:25]
	v_fma_f64 v[62:63], v[52:53], s[24:25], -v[62:63]
	v_add_f64 v[66:67], v[66:67], v[75:76]
	v_fma_f64 v[75:76], v[36:37], s[26:27], v[68:69]
	v_add_f64 v[62:63], v[62:63], v[70:71]
	v_fma_f64 v[68:69], v[36:37], s[44:45], v[68:69]
	v_mul_f64 v[70:71], v[38:39], s[34:35]
	v_add_f64 v[75:76], v[75:76], v[77:78]
	v_add_f64 v[68:69], v[68:69], v[79:80]
	v_fma_f64 v[77:78], v[52:53], s[2:3], v[70:71]
	v_mul_f64 v[79:80], v[54:55], s[2:3]
	v_fma_f64 v[70:71], v[52:53], s[2:3], -v[70:71]
	v_add_f64 v[77:78], v[77:78], v[87:88]
	v_fma_f64 v[83:84], v[36:37], s[0:1], v[79:80]
	v_add_f64 v[70:71], v[70:71], v[81:82]
	v_fma_f64 v[79:80], v[36:37], s[34:35], v[79:80]
	v_mul_f64 v[81:82], v[38:39], s[18:19]
	v_add_f64 v[83:84], v[83:84], v[93:94]
	v_mul_f64 v[93:94], v[54:55], s[38:39]
	v_add_f64 v[79:80], v[79:80], v[85:86]
	v_fma_f64 v[85:86], v[52:53], s[16:17], v[81:82]
	v_fma_f64 v[81:82], v[52:53], s[16:17], -v[81:82]
	v_add_f64 v[10:11], v[85:86], v[10:11]
	v_mul_f64 v[85:86], v[54:55], s[16:17]
	v_add_f64 v[81:82], v[81:82], v[89:90]
	v_fma_f64 v[87:88], v[36:37], s[36:37], v[85:86]
	v_fma_f64 v[85:86], v[36:37], s[18:19], v[85:86]
	v_add_f64 v[87:88], v[87:88], v[99:100]
	v_add_f64 v[8:9], v[85:86], v[8:9]
	v_mul_f64 v[85:86], v[38:39], s[42:43]
	v_fma_f64 v[89:90], v[52:53], s[38:39], v[85:86]
	v_fma_f64 v[85:86], v[52:53], s[38:39], -v[85:86]
	v_add_f64 v[89:90], v[89:90], v[95:96]
	v_fma_f64 v[95:96], v[36:37], s[50:51], v[93:94]
	v_add_f64 v[85:86], v[85:86], v[91:92]
	v_fma_f64 v[91:92], v[36:37], s[42:43], v[93:94]
	v_mul_f64 v[93:94], v[38:39], s[56:57]
	v_mul_f64 v[38:39], v[38:39], s[46:47]
	v_add_f64 v[72:73], v[95:96], v[72:73]
	v_add_f64 v[91:92], v[91:92], v[97:98]
	v_fma_f64 v[95:96], v[52:53], s[28:29], v[93:94]
	v_fma_f64 v[93:94], v[52:53], s[28:29], -v[93:94]
	v_mul_f64 v[97:98], v[54:55], s[28:29]
	v_mul_f64 v[54:55], v[54:55], s[4:5]
	v_add_f64 v[95:96], v[95:96], v[103:104]
	v_add_f64 v[93:94], v[93:94], v[101:102]
	v_fma_f64 v[101:102], v[52:53], s[4:5], v[38:39]
	v_fma_f64 v[38:39], v[52:53], s[4:5], -v[38:39]
	v_fma_f64 v[99:100], v[36:37], s[30:31], v[97:98]
	v_fma_f64 v[97:98], v[36:37], s[56:57], v[97:98]
	;; [unrolled: 1-line block ×4, first 2 shown]
	v_add_f64 v[101:102], v[101:102], v[109:110]
	v_add_f64 v[38:39], v[38:39], v[46:47]
	;; [unrolled: 1-line block ×3, first 2 shown]
	v_add_f64 v[30:31], v[30:31], -v[34:35]
	v_add_f64 v[97:98], v[97:98], v[105:106]
	v_add_f64 v[36:37], v[36:37], v[44:45]
	;; [unrolled: 1-line block ×3, first 2 shown]
	v_add_f64 v[28:29], v[28:29], -v[32:33]
	v_add_f64 v[103:104], v[103:104], v[111:112]
	v_add_f64 v[99:100], v[99:100], v[107:108]
	v_mul_f64 v[54:55], v[46:47], s[38:39]
	v_mul_f64 v[32:33], v[30:31], s[26:27]
	v_fma_f64 v[34:35], v[44:45], s[24:25], v[32:33]
	v_fma_f64 v[32:33], v[44:45], s[24:25], -v[32:33]
	v_add_f64 v[34:35], v[34:35], v[42:43]
	v_mul_f64 v[42:43], v[46:47], s[24:25]
	v_add_f64 v[32:33], v[32:33], v[40:41]
	v_fma_f64 v[52:53], v[28:29], s[44:45], v[42:43]
	v_fma_f64 v[40:41], v[28:29], s[26:27], v[42:43]
	v_mul_f64 v[42:43], v[30:31], s[50:51]
	v_add_f64 v[52:53], v[52:53], v[60:61]
	v_add_f64 v[40:41], v[40:41], v[48:49]
	v_fma_f64 v[48:49], v[44:45], s[38:39], v[42:43]
	v_fma_f64 v[42:43], v[44:45], s[38:39], -v[42:43]
	v_mul_f64 v[60:61], v[46:47], s[4:5]
	v_add_f64 v[48:49], v[48:49], v[56:57]
	v_fma_f64 v[56:57], v[28:29], s[42:43], v[54:55]
	v_add_f64 v[42:43], v[42:43], v[50:51]
	v_fma_f64 v[50:51], v[28:29], s[50:51], v[54:55]
	v_mul_f64 v[54:55], v[30:31], s[46:47]
	v_add_f64 v[56:57], v[56:57], v[64:65]
	v_fma_f64 v[64:65], v[28:29], s[12:13], v[60:61]
	v_add_f64 v[50:51], v[50:51], v[58:59]
	v_fma_f64 v[58:59], v[44:45], s[4:5], v[54:55]
	v_fma_f64 v[54:55], v[44:45], s[4:5], -v[54:55]
	v_fma_f64 v[60:61], v[28:29], s[46:47], v[60:61]
	v_add_f64 v[64:65], v[64:65], v[75:76]
	v_add_f64 v[58:59], v[58:59], v[66:67]
	;; [unrolled: 1-line block ×3, first 2 shown]
	v_mul_f64 v[62:63], v[30:31], s[18:19]
	v_add_f64 v[60:61], v[60:61], v[68:69]
	v_mul_f64 v[68:69], v[46:47], s[16:17]
	v_fma_f64 v[66:67], v[44:45], s[16:17], v[62:63]
	v_fma_f64 v[62:63], v[44:45], s[16:17], -v[62:63]
	v_fma_f64 v[75:76], v[28:29], s[36:37], v[68:69]
	v_fma_f64 v[68:69], v[28:29], s[18:19], v[68:69]
	v_add_f64 v[66:67], v[66:67], v[77:78]
	v_add_f64 v[62:63], v[62:63], v[70:71]
	v_mul_f64 v[70:71], v[30:31], s[48:49]
	v_add_f64 v[68:69], v[68:69], v[79:80]
	v_add_f64 v[75:76], v[75:76], v[83:84]
	v_mul_f64 v[83:84], v[46:47], s[20:21]
	v_fma_f64 v[77:78], v[44:45], s[40:41], v[70:71]
	v_fma_f64 v[70:71], v[44:45], s[40:41], -v[70:71]
	v_add_f64 v[10:11], v[77:78], v[10:11]
	v_mul_f64 v[77:78], v[46:47], s[40:41]
	v_add_f64 v[70:71], v[70:71], v[81:82]
	v_fma_f64 v[79:80], v[28:29], s[54:55], v[77:78]
	v_fma_f64 v[77:78], v[28:29], s[48:49], v[77:78]
	v_add_f64 v[79:80], v[79:80], v[87:88]
	v_add_f64 v[8:9], v[77:78], v[8:9]
	v_mul_f64 v[77:78], v[30:31], s[52:53]
	v_fma_f64 v[87:88], v[28:29], s[22:23], v[83:84]
	v_fma_f64 v[83:84], v[28:29], s[52:53], v[83:84]
	v_fma_f64 v[81:82], v[44:45], s[20:21], v[77:78]
	v_fma_f64 v[77:78], v[44:45], s[20:21], -v[77:78]
	v_add_f64 v[72:73], v[87:88], v[72:73]
	v_add_f64 v[83:84], v[83:84], v[91:92]
	;; [unrolled: 1-line block ×4, first 2 shown]
	v_mul_f64 v[85:86], v[30:31], s[0:1]
	v_mul_f64 v[30:31], v[30:31], s[30:31]
	;; [unrolled: 1-line block ×4, first 2 shown]
	v_fma_f64 v[87:88], v[44:45], s[2:3], v[85:86]
	v_fma_f64 v[85:86], v[44:45], s[2:3], -v[85:86]
	v_fma_f64 v[91:92], v[28:29], s[34:35], v[89:90]
	v_fma_f64 v[89:90], v[28:29], s[0:1], v[89:90]
	v_add_f64 v[87:88], v[87:88], v[95:96]
	v_add_f64 v[85:86], v[85:86], v[93:94]
	v_fma_f64 v[93:94], v[44:45], s[28:29], v[30:31]
	v_fma_f64 v[30:31], v[44:45], s[28:29], -v[30:31]
	v_fma_f64 v[95:96], v[28:29], s[56:57], v[46:47]
	v_fma_f64 v[28:29], v[28:29], s[30:31], v[46:47]
	v_add_f64 v[89:90], v[89:90], v[97:98]
	v_add_f64 v[91:92], v[91:92], v[99:100]
	;; [unrolled: 1-line block ×5, first 2 shown]
	v_add_f64 v[22:23], v[22:23], -v[26:27]
	v_add_f64 v[28:29], v[28:29], v[36:37]
	v_add_f64 v[36:37], v[20:21], v[24:25]
	v_add_f64 v[20:21], v[20:21], -v[24:25]
	v_add_f64 v[95:96], v[95:96], v[103:104]
	v_mul_f64 v[46:47], v[38:39], s[24:25]
	v_mul_f64 v[24:25], v[22:23], s[30:31]
	v_fma_f64 v[26:27], v[36:37], s[28:29], v[24:25]
	v_fma_f64 v[24:25], v[36:37], s[28:29], -v[24:25]
	v_add_f64 v[26:27], v[26:27], v[34:35]
	v_mul_f64 v[34:35], v[38:39], s[28:29]
	v_add_f64 v[24:25], v[24:25], v[32:33]
	v_fma_f64 v[44:45], v[20:21], s[56:57], v[34:35]
	v_fma_f64 v[32:33], v[20:21], s[30:31], v[34:35]
	v_mul_f64 v[34:35], v[22:23], s[44:45]
	v_add_f64 v[44:45], v[44:45], v[52:53]
	v_add_f64 v[32:33], v[32:33], v[40:41]
	v_fma_f64 v[40:41], v[36:37], s[24:25], v[34:35]
	v_fma_f64 v[34:35], v[36:37], s[24:25], -v[34:35]
	v_mul_f64 v[52:53], v[38:39], s[2:3]
	v_add_f64 v[40:41], v[40:41], v[48:49]
	v_fma_f64 v[48:49], v[20:21], s[26:27], v[46:47]
	v_add_f64 v[34:35], v[34:35], v[42:43]
	v_fma_f64 v[42:43], v[20:21], s[44:45], v[46:47]
	v_mul_f64 v[46:47], v[22:23], s[0:1]
	v_add_f64 v[48:49], v[48:49], v[56:57]
	v_fma_f64 v[56:57], v[20:21], s[34:35], v[52:53]
	v_add_f64 v[42:43], v[42:43], v[50:51]
	v_fma_f64 v[50:51], v[36:37], s[2:3], v[46:47]
	v_fma_f64 v[46:47], v[36:37], s[2:3], -v[46:47]
	v_fma_f64 v[52:53], v[20:21], s[0:1], v[52:53]
	v_add_f64 v[56:57], v[56:57], v[64:65]
	v_add_f64 v[50:51], v[50:51], v[58:59]
	;; [unrolled: 1-line block ×3, first 2 shown]
	v_mul_f64 v[54:55], v[22:23], s[42:43]
	v_add_f64 v[52:53], v[52:53], v[60:61]
	v_mul_f64 v[60:61], v[38:39], s[38:39]
	v_fma_f64 v[58:59], v[36:37], s[38:39], v[54:55]
	v_fma_f64 v[54:55], v[36:37], s[38:39], -v[54:55]
	v_fma_f64 v[64:65], v[20:21], s[50:51], v[60:61]
	v_fma_f64 v[60:61], v[20:21], s[42:43], v[60:61]
	v_add_f64 v[58:59], v[58:59], v[66:67]
	v_add_f64 v[54:55], v[54:55], v[62:63]
	v_mul_f64 v[62:63], v[22:23], s[52:53]
	v_add_f64 v[60:61], v[60:61], v[68:69]
	v_add_f64 v[64:65], v[64:65], v[75:76]
	v_mul_f64 v[75:76], v[38:39], s[4:5]
	v_fma_f64 v[66:67], v[36:37], s[20:21], v[62:63]
	v_fma_f64 v[62:63], v[36:37], s[20:21], -v[62:63]
	v_add_f64 v[10:11], v[66:67], v[10:11]
	v_mul_f64 v[66:67], v[38:39], s[20:21]
	v_add_f64 v[62:63], v[62:63], v[70:71]
	v_fma_f64 v[68:69], v[20:21], s[22:23], v[66:67]
	v_fma_f64 v[66:67], v[20:21], s[52:53], v[66:67]
	v_add_f64 v[68:69], v[68:69], v[79:80]
	v_add_f64 v[8:9], v[66:67], v[8:9]
	v_mul_f64 v[66:67], v[22:23], s[12:13]
	v_fma_f64 v[79:80], v[20:21], s[46:47], v[75:76]
	v_fma_f64 v[75:76], v[20:21], s[12:13], v[75:76]
	;; [unrolled: 1-line block ×3, first 2 shown]
	v_fma_f64 v[66:67], v[36:37], s[4:5], -v[66:67]
	v_add_f64 v[72:73], v[79:80], v[72:73]
	v_add_f64 v[75:76], v[75:76], v[83:84]
	;; [unrolled: 1-line block ×4, first 2 shown]
	v_mul_f64 v[77:78], v[22:23], s[48:49]
	v_mul_f64 v[22:23], v[22:23], s[36:37]
	;; [unrolled: 1-line block ×4, first 2 shown]
	v_fma_f64 v[79:80], v[36:37], s[40:41], v[77:78]
	v_fma_f64 v[77:78], v[36:37], s[40:41], -v[77:78]
	v_fma_f64 v[83:84], v[20:21], s[54:55], v[81:82]
	v_fma_f64 v[81:82], v[20:21], s[48:49], v[81:82]
	v_add_f64 v[79:80], v[79:80], v[87:88]
	v_add_f64 v[77:78], v[77:78], v[85:86]
	v_fma_f64 v[85:86], v[36:37], s[16:17], v[22:23]
	v_fma_f64 v[22:23], v[36:37], s[16:17], -v[22:23]
	v_fma_f64 v[87:88], v[20:21], s[18:19], v[38:39]
	v_fma_f64 v[20:21], v[20:21], s[36:37], v[38:39]
	v_add_f64 v[81:82], v[81:82], v[89:90]
	v_add_f64 v[83:84], v[83:84], v[91:92]
	;; [unrolled: 1-line block ×7, first 2 shown]
	v_add_f64 v[14:15], v[14:15], -v[18:19]
	v_add_f64 v[20:21], v[20:21], v[28:29]
	v_add_f64 v[28:29], v[12:13], v[16:17]
	v_add_f64 v[12:13], v[12:13], -v[16:17]
	v_add_f64 v[87:88], v[87:88], v[95:96]
	v_add_f64 v[95:96], v[2:3], -v[6:7]
	v_add_f64 v[93:94], v[0:1], -v[4:5]
	v_mul_f64 v[38:39], v[30:31], s[16:17]
	v_mul_f64 v[16:17], v[14:15], s[42:43]
	;; [unrolled: 1-line block ×4, first 2 shown]
	v_fma_f64 v[18:19], v[28:29], s[38:39], v[16:17]
	v_fma_f64 v[16:17], v[28:29], s[38:39], -v[16:17]
	v_fma_f64 v[2:3], v[93:94], s[54:55], v[6:7]
	v_fma_f64 v[6:7], v[93:94], s[48:49], v[6:7]
	;; [unrolled: 1-line block ×3, first 2 shown]
	v_fma_f64 v[4:5], v[89:90], s[40:41], -v[4:5]
	v_add_f64 v[18:19], v[18:19], v[26:27]
	v_mul_f64 v[26:27], v[30:31], s[38:39]
	v_add_f64 v[16:17], v[16:17], v[24:25]
	v_add_f64 v[0:1], v[0:1], v[18:19]
	v_fma_f64 v[36:37], v[12:13], s[50:51], v[26:27]
	v_fma_f64 v[24:25], v[12:13], s[42:43], v[26:27]
	v_mul_f64 v[26:27], v[14:15], s[36:37]
	v_add_f64 v[4:5], v[4:5], v[16:17]
	v_add_f64 v[36:37], v[36:37], v[44:45]
	;; [unrolled: 1-line block ×3, first 2 shown]
	v_fma_f64 v[32:33], v[28:29], s[16:17], v[26:27]
	v_fma_f64 v[26:27], v[28:29], s[16:17], -v[26:27]
	v_mul_f64 v[44:45], v[30:31], s[20:21]
	v_add_f64 v[2:3], v[2:3], v[36:37]
	v_mul_f64 v[36:37], v[95:96], s[30:31]
	v_add_f64 v[32:33], v[32:33], v[40:41]
	v_fma_f64 v[40:41], v[12:13], s[18:19], v[38:39]
	v_add_f64 v[26:27], v[26:27], v[34:35]
	v_fma_f64 v[34:35], v[12:13], s[36:37], v[38:39]
	v_mul_f64 v[38:39], v[14:15], s[22:23]
	v_add_f64 v[6:7], v[6:7], v[24:25]
	v_add_f64 v[40:41], v[40:41], v[48:49]
	v_fma_f64 v[48:49], v[12:13], s[52:53], v[44:45]
	v_add_f64 v[34:35], v[34:35], v[42:43]
	v_fma_f64 v[42:43], v[28:29], s[20:21], v[38:39]
	v_fma_f64 v[38:39], v[28:29], s[20:21], -v[38:39]
	v_fma_f64 v[44:45], v[12:13], s[22:23], v[44:45]
	v_add_f64 v[48:49], v[48:49], v[56:57]
	v_add_f64 v[42:43], v[42:43], v[50:51]
	;; [unrolled: 1-line block ×3, first 2 shown]
	v_mul_f64 v[46:47], v[14:15], s[56:57]
	v_add_f64 v[44:45], v[44:45], v[52:53]
	v_mul_f64 v[52:53], v[30:31], s[28:29]
	v_fma_f64 v[50:51], v[28:29], s[28:29], v[46:47]
	v_fma_f64 v[46:47], v[28:29], s[28:29], -v[46:47]
	v_fma_f64 v[56:57], v[12:13], s[30:31], v[52:53]
	v_fma_f64 v[52:53], v[12:13], s[56:57], v[52:53]
	v_add_f64 v[50:51], v[50:51], v[58:59]
	v_add_f64 v[46:47], v[46:47], v[54:55]
	v_mul_f64 v[54:55], v[14:15], s[0:1]
	v_add_f64 v[52:53], v[52:53], v[60:61]
	v_add_f64 v[56:57], v[56:57], v[64:65]
	v_fma_f64 v[58:59], v[28:29], s[2:3], v[54:55]
	v_fma_f64 v[54:55], v[28:29], s[2:3], -v[54:55]
	v_add_f64 v[58:59], v[58:59], v[10:11]
	v_mul_f64 v[10:11], v[30:31], s[2:3]
	v_add_f64 v[54:55], v[54:55], v[62:63]
	v_fma_f64 v[60:61], v[12:13], s[34:35], v[10:11]
	v_fma_f64 v[10:11], v[12:13], s[0:1], v[10:11]
	v_add_f64 v[60:61], v[60:61], v[68:69]
	v_add_f64 v[62:63], v[10:11], v[8:9]
	v_mul_f64 v[8:9], v[14:15], s[48:49]
	v_fma_f64 v[10:11], v[28:29], s[40:41], v[8:9]
	v_fma_f64 v[8:9], v[28:29], s[40:41], -v[8:9]
	v_add_f64 v[64:65], v[10:11], v[70:71]
	v_mul_f64 v[10:11], v[30:31], s[40:41]
	v_add_f64 v[66:67], v[8:9], v[66:67]
	v_fma_f64 v[8:9], v[12:13], s[48:49], v[10:11]
	v_fma_f64 v[68:69], v[12:13], s[54:55], v[10:11]
	v_add_f64 v[70:71], v[8:9], v[75:76]
	v_mul_f64 v[8:9], v[14:15], s[46:47]
	v_add_f64 v[68:69], v[68:69], v[72:73]
	v_fma_f64 v[10:11], v[28:29], s[4:5], v[8:9]
	v_fma_f64 v[8:9], v[28:29], s[4:5], -v[8:9]
	v_add_f64 v[72:73], v[10:11], v[79:80]
	v_mul_f64 v[10:11], v[30:31], s[4:5]
	v_add_f64 v[77:78], v[8:9], v[77:78]
	v_fma_f64 v[8:9], v[12:13], s[46:47], v[10:11]
	v_fma_f64 v[75:76], v[12:13], s[12:13], v[10:11]
	v_add_f64 v[79:80], v[8:9], v[81:82]
	v_mul_f64 v[8:9], v[14:15], s[26:27]
	v_add_f64 v[75:76], v[75:76], v[83:84]
	v_fma_f64 v[10:11], v[28:29], s[24:25], v[8:9]
	v_fma_f64 v[8:9], v[28:29], s[24:25], -v[8:9]
	v_mul_f64 v[28:29], v[95:96], s[46:47]
	v_add_f64 v[81:82], v[10:11], v[85:86]
	v_mul_f64 v[10:11], v[30:31], s[24:25]
	v_add_f64 v[85:86], v[8:9], v[22:23]
	v_mul_f64 v[22:23], v[91:92], s[38:39]
	v_mul_f64 v[30:31], v[91:92], s[4:5]
	v_fma_f64 v[24:25], v[89:90], s[4:5], v[28:29]
	v_fma_f64 v[28:29], v[89:90], s[4:5], -v[28:29]
	v_fma_f64 v[14:15], v[12:13], s[44:45], v[10:11]
	v_fma_f64 v[8:9], v[12:13], s[26:27], v[10:11]
	;; [unrolled: 1-line block ×4, first 2 shown]
	v_mul_f64 v[12:13], v[95:96], s[34:35]
	v_add_f64 v[28:29], v[28:29], v[46:47]
	v_mul_f64 v[46:47], v[91:92], s[16:17]
	v_add_f64 v[24:25], v[24:25], v[50:51]
	v_add_f64 v[83:84], v[14:15], v[87:88]
	v_mul_f64 v[14:15], v[91:92], s[2:3]
	v_add_f64 v[87:88], v[8:9], v[20:21]
	v_add_f64 v[22:23], v[22:23], v[44:45]
	v_mul_f64 v[44:45], v[95:96], s[36:37]
	v_mul_f64 v[20:21], v[95:96], s[42:43]
	v_fma_f64 v[8:9], v[89:90], s[2:3], v[12:13]
	v_fma_f64 v[12:13], v[89:90], s[2:3], -v[12:13]
	v_add_f64 v[18:19], v[18:19], v[48:49]
	v_fma_f64 v[10:11], v[93:94], s[0:1], v[14:15]
	v_fma_f64 v[14:15], v[93:94], s[34:35], v[14:15]
	;; [unrolled: 1-line block ×3, first 2 shown]
	v_fma_f64 v[20:21], v[89:90], s[38:39], -v[20:21]
	v_add_f64 v[8:9], v[8:9], v[32:33]
	v_add_f64 v[12:13], v[12:13], v[26:27]
	;; [unrolled: 1-line block ×3, first 2 shown]
	v_fma_f64 v[40:41], v[89:90], s[16:17], v[44:45]
	v_fma_f64 v[44:45], v[89:90], s[16:17], -v[44:45]
	v_fma_f64 v[26:27], v[93:94], s[12:13], v[30:31]
	v_fma_f64 v[30:31], v[93:94], s[46:47], v[30:31]
	v_add_f64 v[20:21], v[20:21], v[38:39]
	v_mul_f64 v[38:39], v[91:92], s[28:29]
	v_fma_f64 v[32:33], v[89:90], s[28:29], v[36:37]
	v_fma_f64 v[36:37], v[89:90], s[28:29], -v[36:37]
	v_add_f64 v[40:41], v[40:41], v[64:65]
	v_add_f64 v[44:45], v[44:45], v[66:67]
	buffer_load_dword v64, off, s[60:63], 0 offset:632 ; 4-byte Folded Reload
	buffer_load_dword v65, off, s[60:63], 0 offset:636 ; 4-byte Folded Reload
	;; [unrolled: 1-line block ×4, first 2 shown]
	v_add_f64 v[14:15], v[14:15], v[34:35]
	v_add_f64 v[30:31], v[30:31], v[52:53]
	v_fma_f64 v[34:35], v[93:94], s[56:57], v[38:39]
	v_fma_f64 v[38:39], v[93:94], s[30:31], v[38:39]
	v_add_f64 v[36:37], v[36:37], v[54:55]
	v_mul_f64 v[52:53], v[95:96], s[26:27]
	v_mul_f64 v[54:55], v[91:92], s[24:25]
	v_add_f64 v[16:17], v[16:17], v[42:43]
	v_fma_f64 v[42:43], v[93:94], s[18:19], v[46:47]
	v_add_f64 v[26:27], v[26:27], v[56:57]
	v_add_f64 v[34:35], v[34:35], v[60:61]
	;; [unrolled: 1-line block ×3, first 2 shown]
	v_mul_f64 v[60:61], v[95:96], s[52:53]
	v_mul_f64 v[62:63], v[91:92], s[20:21]
	v_fma_f64 v[48:49], v[89:90], s[24:25], v[52:53]
	v_fma_f64 v[50:51], v[93:94], s[44:45], v[54:55]
	v_add_f64 v[32:33], v[32:33], v[58:59]
	v_fma_f64 v[46:47], v[93:94], s[36:37], v[46:47]
	v_fma_f64 v[52:53], v[89:90], s[24:25], -v[52:53]
	v_fma_f64 v[54:55], v[93:94], s[26:27], v[54:55]
	v_fma_f64 v[56:57], v[89:90], s[20:21], v[60:61]
	;; [unrolled: 1-line block ×3, first 2 shown]
	v_fma_f64 v[60:61], v[89:90], s[20:21], -v[60:61]
	v_fma_f64 v[62:63], v[93:94], s[52:53], v[62:63]
	v_add_f64 v[42:43], v[42:43], v[68:69]
	v_add_f64 v[48:49], v[48:49], v[72:73]
	;; [unrolled: 1-line block ×10, first 2 shown]
	s_waitcnt vmcnt(0)
	ds_write_b128 v118, v[64:67]
	ds_write_b128 v118, v[0:3] offset:16
	ds_write_b128 v118, v[8:11] offset:32
	;; [unrolled: 1-line block ×16, first 2 shown]
	s_and_saveexec_b64 s[58:59], vcc
	s_cbranch_execz .LBB0_13
; %bb.12:
	buffer_store_dword v163, off, s[60:63], 0 offset:696 ; 4-byte Folded Spill
	s_nop 0
	buffer_store_dword v164, off, s[60:63], 0 offset:700 ; 4-byte Folded Spill
	buffer_store_dword v165, off, s[60:63], 0 offset:704 ; 4-byte Folded Spill
	;; [unrolled: 1-line block ×4, first 2 shown]
	buffer_load_dword v164, off, s[60:63], 0 offset:4 ; 4-byte Folded Reload
	s_nop 0
	buffer_load_dword v165, off, s[60:63], 0 offset:8 ; 4-byte Folded Reload
	buffer_load_dword v166, off, s[60:63], 0 offset:12 ; 4-byte Folded Reload
	;; [unrolled: 1-line block ×7, first 2 shown]
	s_nop 0
	buffer_store_dword v208, off, s[60:63], 0 offset:760 ; 4-byte Folded Spill
	s_nop 0
	buffer_store_dword v209, off, s[60:63], 0 offset:764 ; 4-byte Folded Spill
	buffer_store_dword v210, off, s[60:63], 0 offset:768 ; 4-byte Folded Spill
	;; [unrolled: 1-line block ×3, first 2 shown]
	buffer_load_dword v208, off, s[60:63], 0 offset:164 ; 4-byte Folded Reload
	s_nop 0
	buffer_load_dword v209, off, s[60:63], 0 offset:168 ; 4-byte Folded Reload
	buffer_load_dword v210, off, s[60:63], 0 offset:172 ; 4-byte Folded Reload
	buffer_load_dword v211, off, s[60:63], 0 offset:176 ; 4-byte Folded Reload
	s_nop 0
	buffer_store_dword v212, off, s[60:63], 0 offset:776 ; 4-byte Folded Spill
	s_nop 0
	buffer_store_dword v213, off, s[60:63], 0 offset:780 ; 4-byte Folded Spill
	buffer_store_dword v214, off, s[60:63], 0 offset:784 ; 4-byte Folded Spill
	;; [unrolled: 1-line block ×3, first 2 shown]
	buffer_load_dword v212, off, s[60:63], 0 offset:180 ; 4-byte Folded Reload
	s_nop 0
	buffer_load_dword v213, off, s[60:63], 0 offset:184 ; 4-byte Folded Reload
	buffer_load_dword v214, off, s[60:63], 0 offset:188 ; 4-byte Folded Reload
	;; [unrolled: 1-line block ×3, first 2 shown]
	s_nop 0
	buffer_store_dword v197, off, s[60:63], 0 offset:744 ; 4-byte Folded Spill
	s_nop 0
	buffer_store_dword v198, off, s[60:63], 0 offset:748 ; 4-byte Folded Spill
	buffer_store_dword v199, off, s[60:63], 0 offset:752 ; 4-byte Folded Spill
	;; [unrolled: 1-line block ×4, first 2 shown]
	s_nop 0
	buffer_store_dword v202, off, s[60:63], 0 offset:796 ; 4-byte Folded Spill
	buffer_store_dword v203, off, s[60:63], 0 offset:800 ; 4-byte Folded Spill
	;; [unrolled: 1-line block ×3, first 2 shown]
	buffer_load_dword v200, off, s[60:63], 0 offset:132 ; 4-byte Folded Reload
	s_nop 0
	buffer_load_dword v201, off, s[60:63], 0 offset:136 ; 4-byte Folded Reload
	buffer_load_dword v202, off, s[60:63], 0 offset:140 ; 4-byte Folded Reload
	;; [unrolled: 1-line block ×3, first 2 shown]
	v_mov_b32_e32 v85, v188
	buffer_store_dword v205, off, s[60:63], 0 offset:848 ; 4-byte Folded Spill
	buffer_load_dword v204, off, s[60:63], 0 offset:148 ; 4-byte Folded Reload
	s_nop 0
	buffer_load_dword v205, off, s[60:63], 0 offset:152 ; 4-byte Folded Reload
	buffer_load_dword v206, off, s[60:63], 0 offset:156 ; 4-byte Folded Reload
	;; [unrolled: 1-line block ×3, first 2 shown]
	s_nop 0
	buffer_store_dword v236, off, s[60:63], 0 offset:728 ; 4-byte Folded Spill
	s_nop 0
	buffer_store_dword v237, off, s[60:63], 0 offset:732 ; 4-byte Folded Spill
	buffer_store_dword v238, off, s[60:63], 0 offset:736 ; 4-byte Folded Spill
	;; [unrolled: 1-line block ×4, first 2 shown]
	buffer_load_dword v196, off, s[60:63], 0 offset:116 ; 4-byte Folded Reload
	s_nop 0
	buffer_load_dword v197, off, s[60:63], 0 offset:120 ; 4-byte Folded Reload
	buffer_load_dword v198, off, s[60:63], 0 offset:124 ; 4-byte Folded Reload
	buffer_load_dword v199, off, s[60:63], 0 offset:128 ; 4-byte Folded Reload
	s_nop 0
	buffer_store_dword v168, off, s[60:63], 0 offset:632 ; 4-byte Folded Spill
	s_nop 0
	buffer_store_dword v169, off, s[60:63], 0 offset:636 ; 4-byte Folded Spill
	buffer_store_dword v170, off, s[60:63], 0 offset:640 ; 4-byte Folded Spill
	;; [unrolled: 1-line block ×3, first 2 shown]
	buffer_load_dword v168, off, s[60:63], 0 offset:20 ; 4-byte Folded Reload
	s_nop 0
	buffer_load_dword v169, off, s[60:63], 0 offset:24 ; 4-byte Folded Reload
	buffer_load_dword v170, off, s[60:63], 0 offset:28 ; 4-byte Folded Reload
	;; [unrolled: 1-line block ×7, first 2 shown]
	s_nop 0
	buffer_store_dword v184, off, s[60:63], 0 offset:712 ; 4-byte Folded Spill
	s_nop 0
	buffer_store_dword v185, off, s[60:63], 0 offset:716 ; 4-byte Folded Spill
	buffer_store_dword v186, off, s[60:63], 0 offset:720 ; 4-byte Folded Spill
	;; [unrolled: 1-line block ×3, first 2 shown]
	buffer_load_dword v184, off, s[60:63], 0 offset:84 ; 4-byte Folded Reload
	s_nop 0
	buffer_load_dword v185, off, s[60:63], 0 offset:88 ; 4-byte Folded Reload
	buffer_load_dword v186, off, s[60:63], 0 offset:92 ; 4-byte Folded Reload
	;; [unrolled: 1-line block ×3, first 2 shown]
	v_mov_b32_e32 v86, v189
	v_mov_b32_e32 v87, v190
	;; [unrolled: 1-line block ×3, first 2 shown]
	s_waitcnt vmcnt(62)
	v_add_f64 v[101:102], v[54:55], -v[164:165]
	v_add_f64 v[50:51], v[56:57], v[166:167]
	v_add_f64 v[237:238], v[56:57], -v[166:167]
	v_add_f64 v[81:82], v[54:55], v[164:165]
	s_waitcnt vmcnt(48)
	v_add_f64 v[22:23], v[208:209], -v[212:213]
	s_waitcnt vmcnt(46)
	v_add_f64 v[36:37], v[210:211], v[214:215]
	v_add_f64 v[252:253], v[210:211], -v[214:215]
	v_add_f64 v[93:94], v[208:209], v[212:213]
	v_mul_f64 v[0:1], v[101:102], s[48:49]
	s_waitcnt vmcnt(31)
	v_add_f64 v[254:255], v[200:201], -v[204:205]
	s_waitcnt vmcnt(29)
	v_add_f64 v[38:39], v[202:203], v[206:207]
	s_waitcnt vmcnt(22)
	v_add_f64 v[58:59], v[188:189], -v[196:197]
	s_waitcnt vmcnt(20)
	v_add_f64 v[40:41], v[190:191], v[198:199]
	buffer_load_dword v188, off, s[60:63], 0 offset:100 ; 4-byte Folded Reload
	buffer_load_dword v189, off, s[60:63], 0 offset:104 ; 4-byte Folded Reload
	;; [unrolled: 1-line block ×4, first 2 shown]
	s_nop 0
	buffer_store_dword v176, off, s[60:63], 0 offset:664 ; 4-byte Folded Spill
	s_nop 0
	buffer_store_dword v177, off, s[60:63], 0 offset:668 ; 4-byte Folded Spill
	buffer_store_dword v178, off, s[60:63], 0 offset:672 ; 4-byte Folded Spill
	buffer_store_dword v179, off, s[60:63], 0 offset:676 ; 4-byte Folded Spill
	buffer_load_dword v176, off, s[60:63], 0 offset:52 ; 4-byte Folded Reload
	s_nop 0
	buffer_load_dword v177, off, s[60:63], 0 offset:56 ; 4-byte Folded Reload
	buffer_load_dword v178, off, s[60:63], 0 offset:60 ; 4-byte Folded Reload
	buffer_load_dword v179, off, s[60:63], 0 offset:64 ; 4-byte Folded Reload
	s_nop 0
	buffer_store_dword v180, off, s[60:63], 0 offset:680 ; 4-byte Folded Spill
	s_nop 0
	buffer_store_dword v181, off, s[60:63], 0 offset:684 ; 4-byte Folded Spill
	buffer_store_dword v182, off, s[60:63], 0 offset:688 ; 4-byte Folded Spill
	buffer_store_dword v183, off, s[60:63], 0 offset:692 ; 4-byte Folded Spill
	buffer_load_dword v180, off, s[60:63], 0 offset:68 ; 4-byte Folded Reload
	s_nop 0
	buffer_load_dword v181, off, s[60:63], 0 offset:72 ; 4-byte Folded Reload
	buffer_load_dword v182, off, s[60:63], 0 offset:76 ; 4-byte Folded Reload
	buffer_load_dword v183, off, s[60:63], 0 offset:80 ; 4-byte Folded Reload
	;; [unrolled: 11-line block ×3, first 2 shown]
	s_waitcnt vmcnt(38)
	v_add_f64 v[99:100], v[62:63], -v[168:169]
	s_waitcnt vmcnt(36)
	v_add_f64 v[48:49], v[64:65], v[170:171]
	v_fma_f64 v[4:5], v[50:51], s[40:41], v[0:1]
	v_add_f64 v[91:92], v[64:65], -v[170:171]
	v_add_f64 v[79:80], v[62:63], v[168:169]
	v_fma_f64 v[0:1], v[50:51], s[40:41], -v[0:1]
	v_add_f64 v[66:67], v[87:88], -v[198:199]
	v_mul_f64 v[24:25], v[58:59], s[36:37]
	v_mul_f64 v[2:3], v[99:100], s[34:35]
	buffer_store_dword v159, off, s[60:63], 0 offset:824 ; 4-byte Folded Spill
	s_nop 0
	buffer_store_dword v160, off, s[60:63], 0 offset:828 ; 4-byte Folded Spill
	buffer_store_dword v161, off, s[60:63], 0 offset:832 ; 4-byte Folded Spill
	;; [unrolled: 1-line block ×3, first 2 shown]
	v_add_f64 v[4:5], v[194:195], v[4:5]
	v_mov_b32_e32 v240, v23
	v_add_f64 v[159:160], v[202:203], -v[206:207]
	v_add_f64 v[0:1], v[194:195], v[0:1]
	v_mul_f64 v[20:21], v[22:23], s[52:53]
	v_mov_b32_e32 v239, v22
	v_fma_f64 v[8:9], v[48:49], s[2:3], v[2:3]
	v_fma_f64 v[2:3], v[48:49], s[2:3], -v[2:3]
	v_mul_f64 v[22:23], v[254:255], s[26:27]
	v_fma_f64 v[34:35], v[40:41], s[16:17], v[24:25]
	v_add_f64 v[97:98], v[85:86], v[196:197]
	v_add_f64 v[95:96], v[200:201], v[204:205]
	;; [unrolled: 1-line block ×3, first 2 shown]
	v_mul_f64 v[8:9], v[237:238], s[48:49]
	v_add_f64 v[0:1], v[2:3], v[0:1]
	v_mul_f64 v[2:3], v[66:67], s[36:37]
	v_fma_f64 v[18:19], v[81:82], s[40:41], -v[8:9]
	v_fma_f64 v[8:9], v[81:82], s[40:41], v[8:9]
	v_add_f64 v[18:19], v[192:193], v[18:19]
	v_add_f64 v[8:9], v[192:193], v[8:9]
	s_waitcnt vmcnt(30)
	v_add_f64 v[68:69], v[184:185], -v[188:189]
	s_waitcnt vmcnt(28)
	v_add_f64 v[42:43], v[186:187], v[190:191]
	v_add_f64 v[70:71], v[186:187], -v[190:191]
	v_add_f64 v[52:53], v[184:185], v[188:189]
	s_waitcnt vmcnt(14)
	v_add_f64 v[77:78], v[176:177], -v[180:181]
	s_waitcnt vmcnt(12)
	v_add_f64 v[44:45], v[178:179], v[182:183]
	s_waitcnt vmcnt(6)
	v_add_f64 v[83:84], v[228:229], -v[172:173]
	s_waitcnt vmcnt(4)
	v_add_f64 v[46:47], v[230:231], v[174:175]
	v_add_f64 v[89:90], v[230:231], -v[174:175]
	v_mul_f64 v[14:15], v[68:69], s[30:31]
	v_add_f64 v[241:242], v[178:179], -v[182:183]
	v_add_f64 v[75:76], v[228:229], v[172:173]
	v_mul_f64 v[10:11], v[77:78], s[46:47]
	v_add_f64 v[60:61], v[176:177], v[180:181]
	v_mul_f64 v[6:7], v[83:84], s[42:43]
	v_mul_f64 v[30:31], v[70:71], s[30:31]
	;; [unrolled: 1-line block ×3, first 2 shown]
	v_fma_f64 v[26:27], v[42:43], s[28:29], v[14:15]
	v_mul_f64 v[32:33], v[241:242], s[46:47]
	v_fma_f64 v[14:15], v[42:43], s[28:29], -v[14:15]
	v_fma_f64 v[16:17], v[44:45], s[4:5], v[10:11]
	v_fma_f64 v[10:11], v[44:45], s[4:5], -v[10:11]
	v_fma_f64 v[12:13], v[46:47], s[38:39], v[6:7]
	v_fma_f64 v[6:7], v[46:47], s[38:39], -v[6:7]
	v_mul_f64 v[109:110], v[89:90], s[22:23]
	v_mul_f64 v[115:116], v[241:242], s[56:57]
	v_fma_f64 v[72:73], v[60:61], s[4:5], -v[32:33]
	v_fma_f64 v[32:33], v[60:61], s[4:5], v[32:33]
	v_mul_f64 v[132:133], v[89:90], s[0:1]
	v_add_f64 v[4:5], v[12:13], v[4:5]
	v_mul_f64 v[12:13], v[91:92], s[34:35]
	v_add_f64 v[0:1], v[6:7], v[0:1]
	v_mul_f64 v[6:7], v[159:160], s[26:27]
	v_fma_f64 v[128:129], v[75:76], s[20:21], -v[109:110]
	v_fma_f64 v[136:137], v[75:76], s[2:3], -v[132:133]
	v_add_f64 v[4:5], v[16:17], v[4:5]
	v_mul_f64 v[16:17], v[89:90], s[42:43]
	v_fma_f64 v[28:29], v[79:80], s[2:3], -v[12:13]
	v_fma_f64 v[12:13], v[79:80], s[2:3], v[12:13]
	v_add_f64 v[0:1], v[10:11], v[0:1]
	v_mul_f64 v[10:11], v[252:253], s[52:53]
	v_add_f64 v[4:5], v[26:27], v[4:5]
	v_fma_f64 v[26:27], v[75:76], s[38:39], -v[16:17]
	v_add_f64 v[18:19], v[28:29], v[18:19]
	v_fma_f64 v[16:17], v[75:76], s[38:39], v[16:17]
	v_add_f64 v[8:9], v[12:13], v[8:9]
	v_fma_f64 v[28:29], v[38:39], s[24:25], v[22:23]
	;; [unrolled: 2-line block ×3, first 2 shown]
	v_add_f64 v[4:5], v[34:35], v[4:5]
	v_add_f64 v[18:19], v[26:27], v[18:19]
	v_fma_f64 v[26:27], v[52:53], s[28:29], -v[30:31]
	v_add_f64 v[8:9], v[16:17], v[8:9]
	v_fma_f64 v[16:17], v[95:96], s[24:25], -v[6:7]
	v_add_f64 v[4:5], v[28:29], v[4:5]
	v_fma_f64 v[28:29], v[97:98], s[16:17], v[2:3]
	v_add_f64 v[12:13], v[72:73], v[18:19]
	v_fma_f64 v[18:19], v[97:98], s[16:17], -v[2:3]
	v_add_f64 v[8:9], v[32:33], v[8:9]
	v_mul_f64 v[72:73], v[83:84], s[22:23]
	v_mul_f64 v[32:33], v[91:92], s[36:37]
	v_add_f64 v[2:3], v[14:15], v[4:5]
	v_mul_f64 v[14:15], v[101:102], s[42:43]
	v_add_f64 v[12:13], v[26:27], v[12:13]
	v_fma_f64 v[26:27], v[52:53], s[28:29], v[30:31]
	v_fma_f64 v[4:5], v[95:96], s[24:25], v[6:7]
	;; [unrolled: 1-line block ×3, first 2 shown]
	v_fma_f64 v[111:112], v[79:80], s[16:17], -v[32:33]
	v_fma_f64 v[32:33], v[79:80], s[16:17], v[32:33]
	v_fma_f64 v[72:73], v[46:47], s[20:21], -v[72:73]
	v_add_f64 v[12:13], v[18:19], v[12:13]
	v_fma_f64 v[18:19], v[40:41], s[16:17], -v[24:25]
	v_fma_f64 v[24:25], v[93:94], s[20:21], -v[10:11]
	v_add_f64 v[8:9], v[26:27], v[8:9]
	v_add_f64 v[12:13], v[16:17], v[12:13]
	v_fma_f64 v[16:17], v[38:39], s[24:25], -v[22:23]
	v_add_f64 v[18:19], v[18:19], v[0:1]
	v_add_f64 v[6:7], v[28:29], v[8:9]
	v_mul_f64 v[22:23], v[99:100], s[36:37]
	v_mul_f64 v[28:29], v[68:69], s[0:1]
	v_fma_f64 v[8:9], v[36:37], s[20:21], -v[20:21]
	v_mul_f64 v[20:21], v[239:240], s[26:27]
	v_add_f64 v[0:1], v[24:25], v[12:13]
	v_fma_f64 v[24:25], v[50:51], s[38:39], v[14:15]
	v_fma_f64 v[14:15], v[50:51], s[38:39], -v[14:15]
	v_add_f64 v[4:5], v[4:5], v[6:7]
	v_mul_f64 v[6:7], v[237:238], s[42:43]
	v_fma_f64 v[103:104], v[48:49], s[16:17], v[22:23]
	v_fma_f64 v[22:23], v[48:49], s[16:17], -v[22:23]
	v_add_f64 v[12:13], v[16:17], v[18:19]
	v_fma_f64 v[18:19], v[93:94], s[20:21], v[10:11]
	v_add_f64 v[24:25], v[194:195], v[24:25]
	v_add_f64 v[14:15], v[194:195], v[14:15]
	v_mul_f64 v[10:11], v[58:59], s[48:49]
	v_fma_f64 v[34:35], v[81:82], s[38:39], -v[6:7]
	v_fma_f64 v[6:7], v[81:82], s[38:39], v[6:7]
	v_fma_f64 v[107:108], v[42:43], s[2:3], v[28:29]
	buffer_store_dword v0, off, s[60:63], 0 offset:856 ; 4-byte Folded Spill
	s_nop 0
	buffer_store_dword v1, off, s[60:63], 0 offset:860 ; 4-byte Folded Spill
	buffer_store_dword v2, off, s[60:63], 0 offset:864 ; 4-byte Folded Spill
	buffer_store_dword v3, off, s[60:63], 0 offset:868 ; 4-byte Folded Spill
	v_mul_f64 v[16:17], v[254:255], s[46:47]
	v_add_f64 v[24:25], v[103:104], v[24:25]
	v_fma_f64 v[103:104], v[44:45], s[28:29], v[105:106]
	v_add_f64 v[14:15], v[22:23], v[14:15]
	v_add_f64 v[34:35], v[192:193], v[34:35]
	;; [unrolled: 1-line block ×3, first 2 shown]
	v_fma_f64 v[30:31], v[40:41], s[40:41], v[10:11]
	v_fma_f64 v[105:106], v[44:45], s[28:29], -v[105:106]
	v_add_f64 v[2:3], v[8:9], v[12:13]
	v_add_f64 v[24:25], v[113:114], v[24:25]
	v_fma_f64 v[113:114], v[60:61], s[28:29], -v[115:116]
	v_add_f64 v[14:15], v[72:73], v[14:15]
	v_add_f64 v[34:35], v[111:112], v[34:35]
	;; [unrolled: 1-line block ×3, first 2 shown]
	v_mul_f64 v[111:112], v[70:71], s[0:1]
	v_fma_f64 v[72:73], v[60:61], s[28:29], v[115:116]
	v_mul_f64 v[32:33], v[66:67], s[48:49]
	v_add_f64 v[22:23], v[103:104], v[24:25]
	v_fma_f64 v[24:25], v[75:76], s[20:21], v[109:110]
	v_fma_f64 v[26:27], v[38:39], s[4:5], v[16:17]
	v_add_f64 v[34:35], v[128:129], v[34:35]
	v_fma_f64 v[28:29], v[42:43], s[2:3], -v[28:29]
	v_fma_f64 v[103:104], v[52:53], s[2:3], -v[111:112]
	v_add_f64 v[14:15], v[105:106], v[14:15]
	v_add_f64 v[0:1], v[18:19], v[4:5]
	;; [unrolled: 1-line block ×4, first 2 shown]
	v_mul_f64 v[24:25], v[159:160], s[46:47]
	v_add_f64 v[34:35], v[113:114], v[34:35]
	v_fma_f64 v[107:108], v[97:98], s[40:41], -v[32:33]
	v_fma_f64 v[32:33], v[97:98], s[40:41], v[32:33]
	v_add_f64 v[14:15], v[28:29], v[14:15]
	v_fma_f64 v[28:29], v[36:37], s[24:25], v[20:21]
	v_add_f64 v[22:23], v[30:31], v[22:23]
	;; [unrolled: 2-line block ×3, first 2 shown]
	v_add_f64 v[34:35], v[103:104], v[34:35]
	v_fma_f64 v[103:104], v[95:96], s[4:5], -v[24:25]
	v_fma_f64 v[12:13], v[95:96], s[4:5], v[24:25]
	v_mul_f64 v[72:73], v[252:253], s[26:27]
	v_fma_f64 v[18:19], v[36:37], s[24:25], -v[20:21]
	v_add_f64 v[22:23], v[26:27], v[22:23]
	v_mul_f64 v[113:114], v[91:92], s[44:45]
	v_add_f64 v[6:7], v[30:31], v[6:7]
	v_add_f64 v[34:35], v[107:108], v[34:35]
	v_mul_f64 v[107:108], v[83:84], s[0:1]
	buffer_store_dword v0, off, s[60:63], 0 offset:888 ; 4-byte Folded Spill
	s_nop 0
	buffer_store_dword v1, off, s[60:63], 0 offset:892 ; 4-byte Folded Spill
	buffer_store_dword v2, off, s[60:63], 0 offset:896 ; 4-byte Folded Spill
	;; [unrolled: 1-line block ×3, first 2 shown]
	v_fma_f64 v[26:27], v[93:94], s[24:25], -v[72:73]
	v_fma_f64 v[20:21], v[93:94], s[24:25], v[72:73]
	v_mul_f64 v[72:73], v[99:100], s[44:45]
	v_fma_f64 v[134:135], v[79:80], s[24:25], -v[113:114]
	v_add_f64 v[24:25], v[32:33], v[6:7]
	v_add_f64 v[30:31], v[103:104], v[34:35]
	v_mul_f64 v[34:35], v[237:238], s[30:31]
	v_fma_f64 v[130:131], v[46:47], s[2:3], v[107:108]
	v_fma_f64 v[113:114], v[79:80], s[24:25], v[113:114]
	v_fma_f64 v[10:11], v[40:41], s[40:41], -v[10:11]
	v_fma_f64 v[128:129], v[48:49], s[24:25], v[72:73]
	v_fma_f64 v[72:73], v[48:49], s[24:25], -v[72:73]
	v_add_f64 v[12:13], v[12:13], v[24:25]
	v_mul_f64 v[24:25], v[101:102], s[30:31]
	v_fma_f64 v[115:116], v[81:82], s[28:29], -v[34:35]
	v_fma_f64 v[34:35], v[81:82], s[28:29], v[34:35]
	v_add_f64 v[0:1], v[26:27], v[30:31]
	v_mul_f64 v[30:31], v[77:78], s[42:43]
	v_add_f64 v[2:3], v[28:29], v[22:23]
	v_mul_f64 v[28:29], v[68:69], s[52:53]
	v_fma_f64 v[107:108], v[46:47], s[2:3], -v[107:108]
	v_fma_f64 v[105:106], v[50:51], s[28:29], v[24:25]
	v_fma_f64 v[24:25], v[50:51], s[28:29], -v[24:25]
	v_add_f64 v[115:116], v[192:193], v[115:116]
	v_add_f64 v[34:35], v[192:193], v[34:35]
	v_fma_f64 v[111:112], v[44:45], s[38:39], v[30:31]
	v_fma_f64 v[16:17], v[38:39], s[4:5], -v[16:17]
	v_add_f64 v[14:15], v[10:11], v[14:15]
	v_mul_f64 v[22:23], v[58:59], s[12:13]
	v_add_f64 v[105:106], v[194:195], v[105:106]
	v_add_f64 v[24:25], v[194:195], v[24:25]
	;; [unrolled: 1-line block ×4, first 2 shown]
	v_mul_f64 v[113:114], v[70:71], s[52:53]
	v_fma_f64 v[109:110], v[42:43], s[20:21], v[28:29]
	v_fma_f64 v[30:31], v[44:45], s[38:39], -v[30:31]
	v_add_f64 v[14:15], v[16:17], v[14:15]
	v_add_f64 v[105:106], v[128:129], v[105:106]
	v_mul_f64 v[128:129], v[241:242], s[42:43]
	v_add_f64 v[24:25], v[72:73], v[24:25]
	v_add_f64 v[115:116], v[136:137], v[115:116]
	v_mul_f64 v[16:17], v[254:255], s[48:49]
	v_fma_f64 v[103:104], v[40:41], s[4:5], v[22:23]
	v_fma_f64 v[28:29], v[42:43], s[20:21], -v[28:29]
	v_mul_f64 v[26:27], v[239:240], s[36:37]
	v_add_f64 v[72:73], v[130:131], v[105:106]
	v_fma_f64 v[105:106], v[75:76], s[2:3], v[132:133]
	v_fma_f64 v[130:131], v[60:61], s[38:39], -v[128:129]
	v_add_f64 v[24:25], v[107:108], v[24:25]
	v_fma_f64 v[107:108], v[60:61], s[38:39], v[128:129]
	v_fma_f64 v[32:33], v[38:39], s[40:41], v[16:17]
	v_fma_f64 v[22:23], v[40:41], s[4:5], -v[22:23]
	buffer_store_dword v0, off, s[60:63], 0 offset:872 ; 4-byte Folded Spill
	s_nop 0
	buffer_store_dword v1, off, s[60:63], 0 offset:876 ; 4-byte Folded Spill
	buffer_store_dword v2, off, s[60:63], 0 offset:880 ; 4-byte Folded Spill
	;; [unrolled: 1-line block ×3, first 2 shown]
	v_add_f64 v[72:73], v[111:112], v[72:73]
	v_add_f64 v[34:35], v[105:106], v[34:35]
	v_mul_f64 v[105:106], v[66:67], s[12:13]
	v_fma_f64 v[111:112], v[52:53], s[20:21], -v[113:114]
	v_add_f64 v[115:116], v[130:131], v[115:116]
	v_add_f64 v[24:25], v[30:31], v[24:25]
	;; [unrolled: 1-line block ×5, first 2 shown]
	v_fma_f64 v[72:73], v[52:53], s[20:21], v[113:114]
	v_add_f64 v[34:35], v[107:108], v[34:35]
	v_mul_f64 v[107:108], v[159:160], s[48:49]
	v_fma_f64 v[109:110], v[97:98], s[4:5], -v[105:106]
	v_add_f64 v[111:112], v[111:112], v[115:116]
	v_add_f64 v[24:25], v[28:29], v[24:25]
	v_fma_f64 v[16:17], v[38:39], s[40:41], -v[16:17]
	v_add_f64 v[28:29], v[103:104], v[30:31]
	v_fma_f64 v[30:31], v[97:98], s[4:5], v[105:106]
	v_add_f64 v[34:35], v[72:73], v[34:35]
	v_mul_f64 v[72:73], v[252:253], s[36:37]
	v_fma_f64 v[103:104], v[95:96], s[40:41], -v[107:108]
	v_add_f64 v[105:106], v[109:110], v[111:112]
	v_add_f64 v[22:23], v[22:23], v[24:25]
	v_fma_f64 v[24:25], v[36:37], s[16:17], v[26:27]
	v_add_f64 v[28:29], v[32:33], v[28:29]
	v_fma_f64 v[107:108], v[95:96], s[40:41], v[107:108]
	v_add_f64 v[30:31], v[30:31], v[34:35]
	v_fma_f64 v[32:33], v[93:94], s[16:17], -v[72:73]
	buffer_store_dword v0, off, s[60:63], 0 offset:904 ; 4-byte Folded Spill
	s_nop 0
	buffer_store_dword v1, off, s[60:63], 0 offset:908 ; 4-byte Folded Spill
	buffer_store_dword v2, off, s[60:63], 0 offset:912 ; 4-byte Folded Spill
	buffer_store_dword v3, off, s[60:63], 0 offset:916 ; 4-byte Folded Spill
	v_add_f64 v[34:35], v[103:104], v[105:106]
	v_fma_f64 v[26:27], v[36:37], s[16:17], -v[26:27]
	v_add_f64 v[22:23], v[16:17], v[22:23]
	v_add_f64 v[2:3], v[24:25], v[28:29]
	v_fma_f64 v[72:73], v[93:94], s[16:17], v[72:73]
	v_add_f64 v[30:31], v[107:108], v[30:31]
	v_mul_f64 v[103:104], v[101:102], s[26:27]
	v_mul_f64 v[28:29], v[237:238], s[26:27]
	v_add_f64 v[0:1], v[32:33], v[34:35]
	buffer_store_dword v0, off, s[60:63], 0 offset:920 ; 4-byte Folded Spill
	s_nop 0
	buffer_store_dword v1, off, s[60:63], 0 offset:924 ; 4-byte Folded Spill
	buffer_store_dword v2, off, s[60:63], 0 offset:928 ; 4-byte Folded Spill
	;; [unrolled: 1-line block ×3, first 2 shown]
	v_add_f64 v[2:3], v[26:27], v[22:23]
	v_mul_f64 v[26:27], v[99:100], s[50:51]
	v_add_f64 v[0:1], v[72:73], v[30:31]
	v_fma_f64 v[30:31], v[50:51], s[24:25], v[103:104]
	v_mul_f64 v[109:110], v[91:92], s[50:51]
	v_fma_f64 v[111:112], v[81:82], s[24:25], -v[28:29]
	v_mul_f64 v[72:73], v[83:84], s[46:47]
	v_fma_f64 v[103:104], v[50:51], s[24:25], -v[103:104]
	v_mul_f64 v[130:131], v[89:90], s[46:47]
	v_fma_f64 v[107:108], v[48:49], s[38:39], v[26:27]
	v_mul_f64 v[115:116], v[77:78], s[18:19]
	v_add_f64 v[30:31], v[194:195], v[30:31]
	v_fma_f64 v[132:133], v[79:80], s[38:39], -v[109:110]
	v_add_f64 v[111:112], v[192:193], v[111:112]
	v_fma_f64 v[128:129], v[46:47], s[4:5], v[72:73]
	v_fma_f64 v[26:27], v[48:49], s[38:39], -v[26:27]
	v_add_f64 v[103:104], v[194:195], v[103:104]
	v_mul_f64 v[136:137], v[241:242], s[18:19]
	v_fma_f64 v[138:139], v[75:76], s[4:5], -v[130:131]
	v_add_f64 v[30:31], v[107:108], v[30:31]
	v_mul_f64 v[107:108], v[68:69], s[48:49]
	v_add_f64 v[111:112], v[132:133], v[111:112]
	v_fma_f64 v[134:135], v[44:45], s[16:17], v[115:116]
	v_fma_f64 v[72:73], v[46:47], s[4:5], -v[72:73]
	v_fma_f64 v[28:29], v[81:82], s[24:25], v[28:29]
	v_add_f64 v[26:27], v[26:27], v[103:104]
	v_mul_f64 v[103:104], v[70:71], s[48:49]
	v_add_f64 v[30:31], v[128:129], v[30:31]
	v_fma_f64 v[132:133], v[60:61], s[16:17], -v[136:137]
	v_add_f64 v[111:112], v[138:139], v[111:112]
	v_mul_f64 v[32:33], v[58:59], s[52:53]
	v_fma_f64 v[128:129], v[42:43], s[40:41], v[107:108]
	v_fma_f64 v[115:116], v[44:45], s[16:17], -v[115:116]
	v_fma_f64 v[109:110], v[79:80], s[38:39], v[109:110]
	v_add_f64 v[28:29], v[192:193], v[28:29]
	v_add_f64 v[30:31], v[134:135], v[30:31]
	;; [unrolled: 1-line block ×3, first 2 shown]
	v_mul_f64 v[72:73], v[66:67], s[52:53]
	v_fma_f64 v[134:135], v[52:53], s[40:41], -v[103:104]
	v_add_f64 v[111:112], v[132:133], v[111:112]
	v_mov_b32_e32 v20, v159
	v_mov_b32_e32 v21, v160
	v_mul_f64 v[24:25], v[254:255], s[0:1]
	v_fma_f64 v[113:114], v[40:41], s[20:21], v[32:33]
	v_add_f64 v[30:31], v[128:129], v[30:31]
	v_fma_f64 v[107:108], v[42:43], s[40:41], -v[107:108]
	v_fma_f64 v[128:129], v[75:76], s[4:5], v[130:131]
	v_add_f64 v[28:29], v[109:110], v[28:29]
	v_add_f64 v[26:27], v[115:116], v[26:27]
	v_mul_f64 v[109:110], v[20:21], s[0:1]
	v_fma_f64 v[115:116], v[97:98], s[20:21], -v[72:73]
	v_add_f64 v[111:112], v[134:135], v[111:112]
	v_fma_f64 v[105:106], v[38:39], s[2:3], v[24:25]
	v_add_f64 v[30:31], v[113:114], v[30:31]
	v_fma_f64 v[32:33], v[40:41], s[20:21], -v[32:33]
	v_fma_f64 v[113:114], v[60:61], s[16:17], v[136:137]
	v_add_f64 v[28:29], v[128:129], v[28:29]
	v_add_f64 v[26:27], v[107:108], v[26:27]
	v_mul_f64 v[107:108], v[252:253], s[30:31]
	v_fma_f64 v[128:129], v[95:96], s[2:3], -v[109:110]
	v_add_f64 v[111:112], v[115:116], v[111:112]
	v_mul_f64 v[34:35], v[239:240], s[30:31]
	v_fma_f64 v[24:25], v[38:39], s[2:3], -v[24:25]
	v_fma_f64 v[103:104], v[52:53], s[40:41], v[103:104]
	v_add_f64 v[28:29], v[113:114], v[28:29]
	v_add_f64 v[26:27], v[32:33], v[26:27]
	v_add_f64 v[30:31], v[105:106], v[30:31]
	v_fma_f64 v[32:33], v[93:94], s[28:29], -v[107:108]
	v_add_f64 v[105:106], v[128:129], v[111:112]
	v_mul_f64 v[111:112], v[101:102], s[22:23]
	buffer_store_dword v0, off, s[60:63], 0 offset:936 ; 4-byte Folded Spill
	s_nop 0
	buffer_store_dword v1, off, s[60:63], 0 offset:940 ; 4-byte Folded Spill
	buffer_store_dword v2, off, s[60:63], 0 offset:944 ; 4-byte Folded Spill
	;; [unrolled: 1-line block ×3, first 2 shown]
	v_fma_f64 v[115:116], v[36:37], s[28:29], v[34:35]
	v_fma_f64 v[34:35], v[36:37], s[28:29], -v[34:35]
	v_fma_f64 v[72:73], v[97:98], s[20:21], v[72:73]
	v_add_f64 v[28:29], v[103:104], v[28:29]
	v_add_f64 v[103:104], v[24:25], v[26:27]
	v_mul_f64 v[113:114], v[99:100], s[48:49]
	v_add_f64 v[0:1], v[32:33], v[105:106]
	v_mul_f64 v[32:33], v[237:238], s[22:23]
	v_fma_f64 v[105:106], v[50:51], s[20:21], v[111:112]
	v_add_f64 v[2:3], v[115:116], v[30:31]
	v_fma_f64 v[109:110], v[95:96], s[2:3], v[109:110]
	v_add_f64 v[28:29], v[72:73], v[28:29]
	v_add_f64 v[30:31], v[34:35], v[103:104]
	v_mul_f64 v[34:35], v[83:84], s[44:45]
	v_fma_f64 v[72:73], v[48:49], s[40:41], v[113:114]
	v_mul_f64 v[103:104], v[91:92], s[48:49]
	v_fma_f64 v[115:116], v[81:82], s[20:21], -v[32:33]
	v_add_f64 v[105:106], v[194:195], v[105:106]
	v_mul_f64 v[130:131], v[89:90], s[44:45]
	v_add_f64 v[28:29], v[109:110], v[28:29]
	v_mul_f64 v[109:110], v[77:78], s[34:35]
	v_fma_f64 v[128:129], v[46:47], s[24:25], v[34:35]
	buffer_store_dword v0, off, s[60:63], 0 offset:952 ; 4-byte Folded Spill
	s_nop 0
	buffer_store_dword v1, off, s[60:63], 0 offset:956 ; 4-byte Folded Spill
	buffer_store_dword v2, off, s[60:63], 0 offset:960 ; 4-byte Folded Spill
	;; [unrolled: 1-line block ×3, first 2 shown]
	v_fma_f64 v[132:133], v[79:80], s[40:41], -v[103:104]
	v_add_f64 v[115:116], v[192:193], v[115:116]
	v_add_f64 v[72:73], v[72:73], v[105:106]
	v_mul_f64 v[134:135], v[68:69], s[18:19]
	v_mul_f64 v[138:139], v[241:242], s[34:35]
	v_fma_f64 v[136:137], v[44:45], s[2:3], v[109:110]
	buffer_store_dword v119, off, s[60:63], 0 offset:840 ; 4-byte Folded Spill
	v_fma_f64 v[118:119], v[75:76], s[24:25], -v[130:131]
	v_fma_f64 v[111:112], v[50:51], s[20:21], -v[111:112]
	v_add_f64 v[115:116], v[132:133], v[115:116]
	v_add_f64 v[72:73], v[128:129], v[72:73]
	v_mul_f64 v[128:129], v[58:59], s[42:43]
	v_fma_f64 v[132:133], v[42:43], s[16:17], v[134:135]
	v_mul_f64 v[0:1], v[70:71], s[18:19]
	v_fma_f64 v[2:3], v[60:61], s[2:3], -v[138:139]
	v_fma_f64 v[113:114], v[48:49], s[40:41], -v[113:114]
	v_add_f64 v[111:112], v[194:195], v[111:112]
	v_add_f64 v[115:116], v[118:119], v[115:116]
	;; [unrolled: 1-line block ×3, first 2 shown]
	v_mov_b32_e32 v22, v140
	v_mul_f64 v[118:119], v[254:255], s[56:57]
	v_fma_f64 v[136:137], v[40:41], s[38:39], v[128:129]
	v_mov_b32_e32 v23, v141
	v_mov_b32_e32 v24, v142
	;; [unrolled: 1-line block ×3, first 2 shown]
	v_mul_f64 v[140:141], v[66:67], s[42:43]
	v_fma_f64 v[142:143], v[52:53], s[16:17], -v[0:1]
	v_fma_f64 v[34:35], v[46:47], s[24:25], -v[34:35]
	v_add_f64 v[111:112], v[113:114], v[111:112]
	v_add_f64 v[2:3], v[2:3], v[115:116]
	;; [unrolled: 1-line block ×3, first 2 shown]
	v_mul_f64 v[105:106], v[239:240], s[46:47]
	v_fma_f64 v[113:114], v[38:39], s[28:29], v[118:119]
	v_mul_f64 v[115:116], v[20:21], s[56:57]
	v_fma_f64 v[132:133], v[97:98], s[38:39], -v[140:141]
	v_fma_f64 v[109:110], v[44:45], s[2:3], -v[109:110]
	v_fma_f64 v[32:33], v[81:82], s[20:21], v[32:33]
	v_add_f64 v[34:35], v[34:35], v[111:112]
	v_add_f64 v[2:3], v[142:143], v[2:3]
	;; [unrolled: 1-line block ×3, first 2 shown]
	v_mul_f64 v[111:112], v[252:253], s[46:47]
	v_fma_f64 v[136:137], v[95:96], s[28:29], -v[115:116]
	v_fma_f64 v[134:135], v[42:43], s[16:17], -v[134:135]
	v_fma_f64 v[103:104], v[79:80], s[40:41], v[103:104]
	v_add_f64 v[32:33], v[192:193], v[32:33]
	v_add_f64 v[34:35], v[109:110], v[34:35]
	;; [unrolled: 1-line block ×3, first 2 shown]
	v_fma_f64 v[109:110], v[36:37], s[4:5], v[105:106]
	v_add_f64 v[72:73], v[113:114], v[72:73]
	v_fma_f64 v[107:108], v[93:94], s[28:29], v[107:108]
	v_fma_f64 v[113:114], v[93:94], s[4:5], -v[111:112]
	v_fma_f64 v[128:129], v[40:41], s[38:39], -v[128:129]
	v_fma_f64 v[130:131], v[75:76], s[24:25], v[130:131]
	v_add_f64 v[32:33], v[103:104], v[32:33]
	v_add_f64 v[103:104], v[134:135], v[34:35]
	;; [unrolled: 1-line block ×4, first 2 shown]
	v_mul_f64 v[109:110], v[101:102], s[18:19]
	v_add_f64 v[28:29], v[107:108], v[28:29]
	v_fma_f64 v[72:73], v[38:39], s[28:29], -v[118:119]
	v_fma_f64 v[107:108], v[60:61], s[2:3], v[138:139]
	v_add_f64 v[118:119], v[130:131], v[32:33]
	v_add_f64 v[103:104], v[128:129], v[103:104]
	;; [unrolled: 1-line block ×3, first 2 shown]
	v_fma_f64 v[2:3], v[36:37], s[4:5], -v[105:106]
	v_mul_f64 v[105:106], v[237:238], s[18:19]
	v_mul_f64 v[113:114], v[99:100], s[30:31]
	v_fma_f64 v[128:129], v[50:51], s[16:17], v[109:110]
	v_fma_f64 v[109:110], v[50:51], s[16:17], -v[109:110]
	v_fma_f64 v[0:1], v[52:53], s[16:17], v[0:1]
	v_add_f64 v[107:108], v[107:108], v[118:119]
	v_mul_f64 v[118:119], v[91:92], s[30:31]
	v_mul_f64 v[132:133], v[83:84], s[54:55]
	v_fma_f64 v[130:131], v[81:82], s[16:17], -v[105:106]
	v_fma_f64 v[134:135], v[48:49], s[28:29], v[113:114]
	v_add_f64 v[128:129], v[194:195], v[128:129]
	v_fma_f64 v[113:114], v[48:49], s[28:29], -v[113:114]
	v_add_f64 v[109:110], v[194:195], v[109:110]
	v_add_f64 v[72:73], v[72:73], v[103:104]
	v_fma_f64 v[103:104], v[97:98], s[38:39], v[140:141]
	v_add_f64 v[0:1], v[0:1], v[107:108]
	v_fma_f64 v[107:108], v[95:96], s[28:29], v[115:116]
	v_mul_f64 v[115:116], v[89:90], s[54:55]
	v_fma_f64 v[136:137], v[79:80], s[28:29], -v[118:119]
	v_add_f64 v[130:131], v[192:193], v[130:131]
	v_mul_f64 v[138:139], v[77:78], s[44:45]
	v_fma_f64 v[140:141], v[46:47], s[40:41], v[132:133]
	v_add_f64 v[128:129], v[134:135], v[128:129]
	v_fma_f64 v[132:133], v[46:47], s[40:41], -v[132:133]
	v_add_f64 v[109:110], v[113:114], v[109:110]
	v_add_f64 v[0:1], v[103:104], v[0:1]
	v_mul_f64 v[103:104], v[241:242], s[44:45]
	v_fma_f64 v[134:135], v[75:76], s[40:41], -v[115:116]
	v_add_f64 v[130:131], v[136:137], v[130:131]
	v_mul_f64 v[136:137], v[68:69], s[46:47]
	v_fma_f64 v[142:143], v[44:45], s[24:25], v[138:139]
	v_add_f64 v[128:129], v[140:141], v[128:129]
	v_fma_f64 v[138:139], v[44:45], s[24:25], -v[138:139]
	v_add_f64 v[109:110], v[132:133], v[109:110]
	v_mov_b32_e32 v16, v124
	v_mov_b32_e32 v17, v125
	;; [unrolled: 1-line block ×17, first 2 shown]
	v_mul_f64 v[140:141], v[70:71], s[46:47]
	v_mov_b32_e32 v232, v74
	v_mov_b32_e32 v74, v144
	v_fma_f64 v[144:145], v[60:61], s[24:25], -v[103:104]
	v_add_f64 v[130:131], v[134:135], v[130:131]
	v_mul_f64 v[134:135], v[58:59], s[0:1]
	v_mov_b32_e32 v218, v149
	v_mov_b32_e32 v217, v148
	;; [unrolled: 1-line block ×3, first 2 shown]
	v_fma_f64 v[146:147], v[42:43], s[4:5], v[136:137]
	v_add_f64 v[128:129], v[142:143], v[128:129]
	v_fma_f64 v[136:137], v[42:43], s[4:5], -v[136:137]
	v_add_f64 v[109:110], v[138:139], v[109:110]
	v_fma_f64 v[111:112], v[93:94], s[4:5], v[111:112]
	v_add_f64 v[0:1], v[107:108], v[0:1]
	v_mul_f64 v[142:143], v[66:67], s[0:1]
	v_fma_f64 v[148:149], v[52:53], s[4:5], -v[140:141]
	v_add_f64 v[113:114], v[144:145], v[130:131]
	v_mul_f64 v[130:131], v[254:255], s[22:23]
	v_fma_f64 v[144:145], v[40:41], s[2:3], v[134:135]
	v_add_f64 v[128:129], v[146:147], v[128:129]
	v_fma_f64 v[134:135], v[40:41], s[2:3], -v[134:135]
	v_add_f64 v[136:137], v[136:137], v[109:110]
	v_add_f64 v[107:108], v[111:112], v[0:1]
	v_fma_f64 v[0:1], v[81:82], s[16:17], v[105:106]
	v_mov_b32_e32 v12, v244
	v_mov_b32_e32 v13, v245
	;; [unrolled: 1-line block ×9, first 2 shown]
	v_mul_f64 v[146:147], v[20:21], s[22:23]
	v_mov_b32_e32 v222, v153
	v_mov_b32_e32 v221, v152
	;; [unrolled: 1-line block ×3, first 2 shown]
	v_fma_f64 v[150:151], v[97:98], s[2:3], -v[142:143]
	v_add_f64 v[113:114], v[148:149], v[113:114]
	v_mul_f64 v[132:133], v[239:240], s[42:43]
	v_fma_f64 v[148:149], v[38:39], s[20:21], v[130:131]
	v_add_f64 v[128:129], v[144:145], v[128:129]
	v_add_f64 v[109:110], v[2:3], v[72:73]
	v_fma_f64 v[2:3], v[38:39], s[20:21], -v[130:131]
	v_mul_f64 v[72:73], v[101:102], s[12:13]
	v_add_f64 v[105:106], v[134:135], v[136:137]
	v_fma_f64 v[118:119], v[79:80], s[28:29], v[118:119]
	v_add_f64 v[0:1], v[192:193], v[0:1]
	v_fma_f64 v[152:153], v[95:96], s[20:21], -v[146:147]
	v_add_f64 v[113:114], v[150:151], v[113:114]
	v_fma_f64 v[138:139], v[36:37], s[38:39], v[132:133]
	v_add_f64 v[128:129], v[148:149], v[128:129]
	v_fma_f64 v[130:131], v[36:37], s[38:39], -v[132:133]
	v_mul_f64 v[132:133], v[99:100], s[22:23]
	v_fma_f64 v[134:135], v[50:51], s[4:5], v[72:73]
	v_add_f64 v[2:3], v[2:3], v[105:106]
	v_fma_f64 v[105:106], v[75:76], s[40:41], v[115:116]
	v_add_f64 v[0:1], v[118:119], v[0:1]
	v_mul_f64 v[144:145], v[252:253], s[42:43]
	v_add_f64 v[150:151], v[152:153], v[113:114]
	v_add_f64 v[113:114], v[138:139], v[128:129]
	v_mul_f64 v[128:129], v[237:238], s[12:13]
	v_mul_f64 v[118:119], v[83:84], s[30:31]
	v_fma_f64 v[138:139], v[48:49], s[20:21], v[132:133]
	v_add_f64 v[134:135], v[194:195], v[134:135]
	v_fma_f64 v[103:104], v[60:61], s[24:25], v[103:104]
	v_add_f64 v[0:1], v[105:106], v[0:1]
	v_fma_f64 v[148:149], v[93:94], s[38:39], -v[144:145]
	v_mul_f64 v[115:116], v[91:92], s[22:23]
	v_fma_f64 v[136:137], v[81:82], s[4:5], -v[128:129]
	v_mul_f64 v[152:153], v[77:78], s[48:49]
	v_fma_f64 v[105:106], v[46:47], s[28:29], v[118:119]
	v_add_f64 v[134:135], v[138:139], v[134:135]
	v_fma_f64 v[138:139], v[52:53], s[4:5], v[140:141]
	v_add_f64 v[0:1], v[103:104], v[0:1]
	v_add_f64 v[111:112], v[148:149], v[150:151]
	v_mul_f64 v[148:149], v[89:90], s[30:31]
	v_fma_f64 v[150:151], v[79:80], s[20:21], -v[115:116]
	v_add_f64 v[136:137], v[192:193], v[136:137]
	v_fma_f64 v[103:104], v[44:45], s[40:41], v[152:153]
	v_add_f64 v[105:106], v[105:106], v[134:135]
	v_fma_f64 v[134:135], v[97:98], s[2:3], v[142:143]
	v_add_f64 v[0:1], v[138:139], v[0:1]
	v_mov_b32_e32 v8, v248
	v_mov_b32_e32 v9, v249
	;; [unrolled: 1-line block ×9, first 2 shown]
	v_mul_f64 v[140:141], v[241:242], s[48:49]
	v_mov_b32_e32 v226, v157
	v_mov_b32_e32 v225, v156
	;; [unrolled: 1-line block ×3, first 2 shown]
	v_fma_f64 v[154:155], v[75:76], s[28:29], -v[148:149]
	v_add_f64 v[136:137], v[150:151], v[136:137]
	v_mul_f64 v[150:151], v[68:69], s[50:51]
	v_add_f64 v[103:104], v[103:104], v[105:106]
	v_fma_f64 v[105:106], v[95:96], s[20:21], v[146:147]
	v_add_f64 v[0:1], v[134:135], v[0:1]
	v_fma_f64 v[6:7], v[50:51], s[4:5], -v[72:73]
	v_fma_f64 v[156:157], v[60:61], s[40:41], -v[140:141]
	v_mul_f64 v[138:139], v[58:59], s[44:45]
	v_add_f64 v[136:137], v[154:155], v[136:137]
	v_fma_f64 v[154:155], v[42:43], s[38:39], v[150:151]
	v_fma_f64 v[144:145], v[93:94], s[38:39], v[144:145]
	;; [unrolled: 1-line block ×3, first 2 shown]
	v_add_f64 v[0:1], v[105:106], v[0:1]
	v_add_f64 v[105:106], v[130:131], v[2:3]
	v_fma_f64 v[130:131], v[48:49], s[20:21], -v[132:133]
	v_add_f64 v[6:7], v[194:195], v[6:7]
	v_add_f64 v[136:137], v[156:157], v[136:137]
	v_fma_f64 v[156:157], v[40:41], s[24:25], v[138:139]
	v_add_f64 v[103:104], v[154:155], v[103:104]
	v_fma_f64 v[118:119], v[46:47], s[28:29], -v[118:119]
	v_mul_f64 v[101:102], v[101:102], s[0:1]
	v_mul_f64 v[142:143], v[70:71], s[50:51]
	v_fma_f64 v[115:116], v[79:80], s[20:21], v[115:116]
	v_add_f64 v[6:7], v[130:131], v[6:7]
	v_fma_f64 v[130:131], v[40:41], s[24:25], -v[138:139]
	v_fma_f64 v[138:139], v[42:43], s[38:39], -v[150:151]
	v_add_f64 v[156:157], v[156:157], v[103:104]
	v_add_f64 v[103:104], v[144:145], v[0:1]
	;; [unrolled: 1-line block ×3, first 2 shown]
	v_fma_f64 v[144:145], v[44:45], s[40:41], -v[152:153]
	v_mul_f64 v[99:100], v[99:100], s[12:13]
	v_fma_f64 v[150:151], v[50:51], s[2:3], v[101:102]
	v_add_f64 v[6:7], v[118:119], v[6:7]
	v_fma_f64 v[118:119], v[75:76], s[28:29], v[148:149]
	v_add_f64 v[148:149], v[194:195], v[56:57]
	v_add_f64 v[152:153], v[192:193], v[54:55]
	v_mul_f64 v[146:147], v[66:67], s[44:45]
	v_fma_f64 v[158:159], v[52:53], s[38:39], -v[142:143]
	v_add_f64 v[115:116], v[115:116], v[128:129]
	v_mul_f64 v[83:84], v[83:84], s[18:19]
	v_fma_f64 v[128:129], v[48:49], s[4:5], v[99:100]
	v_add_f64 v[150:151], v[194:195], v[150:151]
	v_add_f64 v[6:7], v[144:145], v[6:7]
	;; [unrolled: 1-line block ×4, first 2 shown]
	v_mul_f64 v[134:135], v[254:255], s[36:37]
	v_mul_f64 v[154:155], v[20:21], s[36:37]
	v_fma_f64 v[160:161], v[97:98], s[24:25], -v[146:147]
	v_add_f64 v[136:137], v[158:159], v[136:137]
	v_fma_f64 v[140:141], v[60:61], s[40:41], v[140:141]
	v_add_f64 v[115:116], v[118:119], v[115:116]
	v_mul_f64 v[77:78], v[77:78], s[22:23]
	v_fma_f64 v[118:119], v[46:47], s[16:17], v[83:84]
	v_add_f64 v[128:129], v[128:129], v[150:151]
	v_add_f64 v[6:7], v[138:139], v[6:7]
	v_fma_f64 v[138:139], v[52:53], s[38:39], v[142:143]
	v_add_f64 v[142:143], v[144:145], v[230:231]
	v_add_f64 v[144:145], v[148:149], v[228:229]
	v_mul_f64 v[158:159], v[239:240], s[34:35]
	v_fma_f64 v[162:163], v[38:39], s[16:17], v[134:135]
	v_fma_f64 v[72:73], v[95:96], s[16:17], -v[154:155]
	v_add_f64 v[136:137], v[160:161], v[136:137]
	v_fma_f64 v[134:135], v[38:39], s[16:17], -v[134:135]
	v_add_f64 v[115:116], v[140:141], v[115:116]
	v_fma_f64 v[140:141], v[44:45], s[20:21], v[77:78]
	v_add_f64 v[118:119], v[118:119], v[128:129]
	v_add_f64 v[6:7], v[130:131], v[6:7]
	v_add_f64 v[130:131], v[142:143], v[178:179]
	v_add_f64 v[142:143], v[144:145], v[176:177]
	v_add_f64 v[72:73], v[72:73], v[136:137]
	v_fma_f64 v[136:137], v[36:37], s[2:3], -v[158:159]
	v_fma_f64 v[50:51], v[50:51], s[2:3], -v[101:102]
	v_mul_f64 v[91:92], v[91:92], s[12:13]
	v_add_f64 v[118:119], v[140:141], v[118:119]
	v_add_f64 v[6:7], v[134:135], v[6:7]
	;; [unrolled: 1-line block ×4, first 2 shown]
	v_fma_f64 v[48:49], v[48:49], s[4:5], -v[99:100]
	v_mul_f64 v[89:90], v[89:90], s[18:19]
	v_add_f64 v[50:51], v[194:195], v[50:51]
	v_fma_f64 v[46:47], v[46:47], s[16:17], -v[83:84]
	v_mul_f64 v[68:69], v[68:69], s[26:27]
	v_add_f64 v[56:57], v[136:137], v[6:7]
	v_add_f64 v[6:7], v[130:131], v[87:88]
	v_add_f64 v[130:131], v[140:141], v[85:86]
	v_mul_f64 v[87:88], v[237:238], s[0:1]
	v_mul_f64 v[85:86], v[241:242], s[22:23]
	v_add_f64 v[48:49], v[48:49], v[50:51]
	v_fma_f64 v[50:51], v[75:76], s[16:17], v[89:90]
	v_fma_f64 v[75:76], v[75:76], s[16:17], -v[89:90]
	v_fma_f64 v[44:45], v[44:45], s[20:21], -v[77:78]
	v_add_f64 v[6:7], v[6:7], v[202:203]
	v_add_f64 v[130:131], v[130:131], v[200:201]
	v_fma_f64 v[128:129], v[97:98], s[24:25], v[146:147]
	v_add_f64 v[115:116], v[138:139], v[115:116]
	v_add_f64 v[46:47], v[46:47], v[48:49]
	v_mul_f64 v[58:59], v[58:59], s[30:31]
	v_fma_f64 v[138:139], v[42:43], s[24:25], v[68:69]
	v_mul_f64 v[70:71], v[70:71], s[26:27]
	v_add_f64 v[6:7], v[6:7], v[210:211]
	v_add_f64 v[101:102], v[130:131], v[208:209]
	v_fma_f64 v[130:131], v[81:82], s[2:3], v[87:88]
	v_fma_f64 v[81:82], v[81:82], s[2:3], -v[87:88]
	v_fma_f64 v[87:88], v[79:80], s[4:5], v[91:92]
	v_fma_f64 v[79:80], v[79:80], s[4:5], -v[91:92]
	;; [unrolled: 2-line block ×3, first 2 shown]
	v_add_f64 v[6:7], v[6:7], v[214:215]
	v_add_f64 v[99:100], v[101:102], v[212:213]
	;; [unrolled: 1-line block ×4, first 2 shown]
	v_fma_f64 v[42:43], v[42:43], s[24:25], -v[68:69]
	v_add_f64 v[44:45], v[44:45], v[46:47]
	v_fma_f64 v[134:135], v[95:96], s[16:17], v[154:155]
	v_add_f64 v[115:116], v[128:129], v[115:116]
	v_add_f64 v[6:7], v[6:7], v[206:207]
	;; [unrolled: 1-line block ×5, first 2 shown]
	v_mul_f64 v[128:129], v[254:255], s[42:43]
	v_fma_f64 v[142:143], v[40:41], s[28:29], v[58:59]
	v_mul_f64 v[66:67], v[66:67], s[30:31]
	v_fma_f64 v[46:47], v[52:53], s[24:25], v[70:71]
	v_add_f64 v[6:7], v[6:7], v[198:199]
	v_add_f64 v[77:78], v[83:84], v[196:197]
	;; [unrolled: 1-line block ×4, first 2 shown]
	v_fma_f64 v[40:41], v[40:41], s[28:29], -v[58:59]
	v_add_f64 v[42:43], v[42:43], v[44:45]
	v_add_f64 v[118:119], v[138:139], v[118:119]
	;; [unrolled: 1-line block ×6, first 2 shown]
	v_fma_f64 v[50:51], v[52:53], s[24:25], -v[70:71]
	v_add_f64 v[52:53], v[60:61], v[75:76]
	v_fma_f64 v[134:135], v[38:39], s[38:39], v[128:129]
	v_mul_f64 v[64:65], v[20:21], s[42:43]
	v_fma_f64 v[44:45], v[97:98], s[28:29], v[66:67]
	v_add_f64 v[6:7], v[6:7], v[182:183]
	v_add_f64 v[58:59], v[68:69], v[180:181]
	;; [unrolled: 1-line block ×3, first 2 shown]
	v_fma_f64 v[48:49], v[97:98], s[28:29], -v[66:67]
	v_add_f64 v[50:51], v[50:51], v[52:53]
	v_fma_f64 v[38:39], v[38:39], s[38:39], -v[128:129]
	v_add_f64 v[40:41], v[40:41], v[42:43]
	v_fma_f64 v[0:1], v[36:37], s[2:3], v[158:159]
	v_add_f64 v[6:7], v[6:7], v[174:175]
	v_add_f64 v[52:53], v[58:59], v[172:173]
	;; [unrolled: 1-line block ×4, first 2 shown]
	v_fma_f64 v[42:43], v[95:96], s[38:39], v[64:65]
	v_add_f64 v[44:45], v[44:45], v[46:47]
	v_fma_f64 v[46:47], v[95:96], s[38:39], -v[64:65]
	v_add_f64 v[48:49], v[48:49], v[50:51]
	v_add_f64 v[38:39], v[38:39], v[40:41]
	;; [unrolled: 1-line block ×4, first 2 shown]
	v_mov_b32_e32 v147, v216
	v_mov_b32_e32 v148, v217
	;; [unrolled: 1-line block ×8, first 2 shown]
	buffer_load_dword v146, off, s[60:63], 0 ; 4-byte Folded Reload
	buffer_load_dword v176, off, s[60:63], 0 offset:664 ; 4-byte Folded Reload
	buffer_load_dword v177, off, s[60:63], 0 offset:668 ; 4-byte Folded Reload
	;; [unrolled: 1-line block ×8, first 2 shown]
	v_mul_f64 v[54:55], v[239:240], s[48:49]
	buffer_load_dword v159, off, s[60:63], 0 offset:824 ; 4-byte Folded Reload
	buffer_load_dword v160, off, s[60:63], 0 offset:828 ; 4-byte Folded Reload
	;; [unrolled: 1-line block ×38, first 2 shown]
	v_add_f64 v[44:45], v[42:43], v[44:45]
	v_add_f64 v[60:61], v[134:135], v[118:119]
	buffer_load_dword v119, off, s[60:63], 0 offset:840 ; 4-byte Folded Reload
	v_add_f64 v[48:49], v[46:47], v[48:49]
	v_add_f64 v[42:43], v[6:7], v[166:167]
	buffer_load_dword v167, off, s[60:63], 0 offset:808 ; 4-byte Folded Reload
	v_add_f64 v[40:41], v[40:41], v[164:165]
	buffer_load_dword v163, off, s[60:63], 0 offset:696 ; 4-byte Folded Reload
	buffer_load_dword v164, off, s[60:63], 0 offset:700 ; 4-byte Folded Reload
	;; [unrolled: 1-line block ×4, first 2 shown]
	v_add_f64 v[46:47], v[0:1], v[2:3]
	buffer_load_dword v0, off, s[60:63], 0 offset:476 ; 4-byte Folded Reload
	buffer_load_dword v1, off, s[60:63], 0 offset:504 ; 4-byte Folded Reload
	v_mul_f64 v[62:63], v[252:253], s[48:49]
	v_mul_f64 v[4:5], v[252:253], s[34:35]
	v_fma_f64 v[50:51], v[36:37], s[40:41], -v[54:55]
	v_fma_f64 v[52:53], v[36:37], s[40:41], v[54:55]
	v_mov_b32_e32 v144, v74
	v_mov_b32_e32 v74, v232
	;; [unrolled: 1-line block ×4, first 2 shown]
	v_fma_f64 v[58:59], v[93:94], s[40:41], v[62:63]
	v_fma_f64 v[132:133], v[93:94], s[2:3], -v[4:5]
	v_fma_f64 v[4:5], v[93:94], s[2:3], v[4:5]
	v_add_f64 v[38:39], v[50:51], v[38:39]
	v_fma_f64 v[62:63], v[93:94], s[40:41], -v[62:63]
	v_mov_b32_e32 v151, v220
	v_add_f64 v[50:51], v[52:53], v[60:61]
	v_mov_b32_e32 v234, v122
	v_add_f64 v[36:37], v[58:59], v[44:45]
	v_add_f64 v[44:45], v[132:133], v[72:73]
	;; [unrolled: 1-line block ×3, first 2 shown]
	v_mov_b32_e32 v233, v121
	v_add_f64 v[48:49], v[62:63], v[48:49]
	v_mov_b32_e32 v232, v120
	v_mov_b32_e32 v120, v124
	;; [unrolled: 1-line block ×35, first 2 shown]
	s_waitcnt vmcnt(0)
	v_lshl_add_u32 v0, v1, 4, v0
	ds_write_b128 v0, v[40:43]
	ds_write_b128 v0, v[36:39] offset:16
	ds_write_b128 v0, v[54:57] offset:32
	;; [unrolled: 1-line block ×5, first 2 shown]
	buffer_load_dword v1, off, s[60:63], 0 offset:936 ; 4-byte Folded Reload
	buffer_load_dword v2, off, s[60:63], 0 offset:940 ; 4-byte Folded Reload
	buffer_load_dword v3, off, s[60:63], 0 offset:944 ; 4-byte Folded Reload
	buffer_load_dword v4, off, s[60:63], 0 offset:948 ; 4-byte Folded Reload
	s_waitcnt vmcnt(0)
	ds_write_b128 v0, v[1:4] offset:96
	buffer_load_dword v1, off, s[60:63], 0 offset:904 ; 4-byte Folded Reload
	buffer_load_dword v2, off, s[60:63], 0 offset:908 ; 4-byte Folded Reload
	buffer_load_dword v3, off, s[60:63], 0 offset:912 ; 4-byte Folded Reload
	buffer_load_dword v4, off, s[60:63], 0 offset:916 ; 4-byte Folded Reload
	s_waitcnt vmcnt(0)
	ds_write_b128 v0, v[1:4] offset:112
	;; [unrolled: 6-line block ×7, first 2 shown]
	ds_write_b128 v0, v[32:35] offset:208
	ds_write_b128 v0, v[111:114] offset:224
	;; [unrolled: 1-line block ×4, first 2 shown]
.LBB0_13:
	s_or_b64 exec, exec, s[58:59]
	s_waitcnt lgkmcnt(0)
	s_barrier
	ds_read_b128 v[0:3], v117 offset:1904
	ds_read_b128 v[4:7], v117
	ds_read_b128 v[8:11], v117 offset:272
	ds_read_b128 v[12:15], v117 offset:3808
	;; [unrolled: 1-line block ×6, first 2 shown]
	s_waitcnt lgkmcnt(7)
	v_mul_f64 v[40:41], v[126:127], v[2:3]
	v_mul_f64 v[42:43], v[126:127], v[0:1]
	s_waitcnt lgkmcnt(2)
	v_mul_f64 v[48:49], v[126:127], v[22:23]
	v_mul_f64 v[50:51], v[126:127], v[20:21]
	;; [unrolled: 1-line block ×4, first 2 shown]
	ds_read_b128 v[32:35], v117 offset:4352
	ds_read_b128 v[36:39], v117 offset:4624
	v_mul_f64 v[52:53], v[122:123], v[18:19]
	v_fma_f64 v[40:41], v[124:125], v[0:1], v[40:41]
	v_fma_f64 v[42:43], v[124:125], v[2:3], -v[42:43]
	v_fma_f64 v[48:49], v[124:125], v[20:21], v[48:49]
	v_fma_f64 v[50:51], v[124:125], v[22:23], -v[50:51]
	s_waitcnt lgkmcnt(3)
	v_mul_f64 v[20:21], v[149:150], v[26:27]
	v_mul_f64 v[22:23], v[149:150], v[24:25]
	v_fma_f64 v[44:45], v[120:121], v[12:13], v[44:45]
	v_fma_f64 v[46:47], v[120:121], v[14:15], -v[46:47]
	ds_read_b128 v[0:3], v117 offset:2720
	ds_read_b128 v[12:15], v117 offset:2992
	v_mul_f64 v[54:55], v[122:123], v[16:17]
	s_waitcnt lgkmcnt(3)
	v_mul_f64 v[56:57], v[142:143], v[34:35]
	v_mul_f64 v[58:59], v[142:143], v[32:33]
	v_fma_f64 v[60:61], v[147:148], v[24:25], v[20:21]
	v_fma_f64 v[62:63], v[147:148], v[26:27], -v[22:23]
	s_waitcnt lgkmcnt(1)
	v_mul_f64 v[24:25], v[157:158], v[2:3]
	v_mul_f64 v[26:27], v[157:158], v[0:1]
	v_fma_f64 v[52:53], v[120:121], v[16:17], v[52:53]
	v_fma_f64 v[54:55], v[120:121], v[18:19], -v[54:55]
	ds_read_b128 v[16:19], v117 offset:4896
	ds_read_b128 v[20:23], v117 offset:5168
	v_fma_f64 v[56:57], v[140:141], v[32:33], v[56:57]
	v_fma_f64 v[58:59], v[140:141], v[34:35], -v[58:59]
	v_mul_f64 v[32:33], v[153:154], v[38:39]
	v_fma_f64 v[64:65], v[155:156], v[0:1], v[24:25]
	v_fma_f64 v[66:67], v[155:156], v[2:3], -v[26:27]
	ds_read_b128 v[0:3], v117 offset:3264
	ds_read_b128 v[24:27], v117 offset:3536
	v_mul_f64 v[34:35], v[153:154], v[36:37]
	s_waitcnt lgkmcnt(4)
	v_mul_f64 v[68:69], v[174:175], v[14:15]
	v_mul_f64 v[70:71], v[174:175], v[12:13]
	s_waitcnt lgkmcnt(1)
	v_mul_f64 v[77:78], v[182:183], v[2:3]
	v_mul_f64 v[79:80], v[182:183], v[0:1]
	v_fma_f64 v[72:73], v[151:152], v[36:37], v[32:33]
	v_mul_f64 v[36:37], v[170:171], v[18:19]
	v_add_f64 v[85:86], v[40:41], v[44:45]
	v_fma_f64 v[75:76], v[151:152], v[38:39], -v[34:35]
	v_fma_f64 v[68:69], v[172:173], v[12:13], v[68:69]
	v_fma_f64 v[70:71], v[172:173], v[14:15], -v[70:71]
	ds_read_b128 v[12:15], v117 offset:544
	ds_read_b128 v[32:35], v117 offset:816
	v_fma_f64 v[77:78], v[180:181], v[0:1], v[77:78]
	v_fma_f64 v[79:80], v[180:181], v[2:3], -v[79:80]
	ds_read_b128 v[0:3], v117 offset:5440
	buffer_load_dword v97, off, s[60:63], 0 offset:584 ; 4-byte Folded Reload
	buffer_load_dword v98, off, s[60:63], 0 offset:588 ; 4-byte Folded Reload
	;; [unrolled: 1-line block ×4, first 2 shown]
	v_mul_f64 v[38:39], v[170:171], v[16:17]
	v_fma_f64 v[81:82], v[168:169], v[16:17], v[36:37]
	s_waitcnt lgkmcnt(3)
	v_mul_f64 v[36:37], v[165:166], v[26:27]
	s_mov_b32 s0, 0xe8584caa
	s_mov_b32 s1, 0xbfebb67a
	;; [unrolled: 1-line block ×4, first 2 shown]
	v_mul_f64 v[16:17], v[178:179], v[22:23]
	v_fma_f64 v[83:84], v[168:169], v[18:19], -v[38:39]
	v_mul_f64 v[38:39], v[165:166], v[24:25]
	v_fma_f64 v[91:92], v[163:164], v[24:25], v[36:37]
	v_mul_f64 v[18:19], v[178:179], v[20:21]
	s_mov_b32 s12, 0xe976ee23
	s_mov_b32 s4, 0x429ad128
	;; [unrolled: 1-line block ×3, first 2 shown]
	v_fma_f64 v[87:88], v[176:177], v[20:21], v[16:17]
	s_mov_b32 s5, 0xbfebfeb5
	v_fma_f64 v[93:94], v[163:164], v[26:27], -v[38:39]
	v_add_f64 v[26:27], v[4:5], v[40:41]
	v_fma_f64 v[38:39], v[85:86], -0.5, v[4:5]
	v_add_f64 v[85:86], v[42:43], -v[46:47]
	v_add_f64 v[40:41], v[40:41], -v[44:45]
	v_fma_f64 v[89:90], v[176:177], v[22:23], -v[18:19]
	ds_read_b128 v[16:19], v117 offset:1088
	ds_read_b128 v[20:23], v117 offset:1360
	s_waitcnt vmcnt(0) lgkmcnt(0)
	s_barrier
	s_mov_b32 s16, 0xaaaaaaaa
	v_fma_f64 v[4:5], v[85:86], s[0:1], v[38:39]
	s_mov_b32 s18, 0x5476071b
	s_mov_b32 s22, 0xb247c609
	;; [unrolled: 1-line block ×11, first 2 shown]
	v_mul_f64 v[24:25], v[99:100], v[2:3]
	v_mul_f64 v[36:37], v[99:100], v[0:1]
	v_fma_f64 v[95:96], v[97:98], v[0:1], v[24:25]
	v_fma_f64 v[97:98], v[97:98], v[2:3], -v[36:37]
	v_add_f64 v[2:3], v[42:43], v[46:47]
	v_add_f64 v[0:1], v[26:27], v[44:45]
	;; [unrolled: 1-line block ×4, first 2 shown]
	v_fma_f64 v[24:25], v[85:86], s[2:3], v[38:39]
	v_add_f64 v[38:39], v[8:9], v[48:49]
	v_add_f64 v[85:86], v[50:51], -v[54:55]
	v_add_f64 v[44:45], v[50:51], v[54:55]
	v_fma_f64 v[42:43], v[2:3], -0.5, v[6:7]
	v_add_f64 v[48:49], v[48:49], -v[52:53]
	v_add_f64 v[2:3], v[26:27], v[46:47]
	v_fma_f64 v[46:47], v[36:37], -0.5, v[8:9]
	v_add_f64 v[8:9], v[38:39], v[52:53]
	v_add_f64 v[38:39], v[60:61], v[56:57]
	v_fma_f64 v[44:45], v[44:45], -0.5, v[10:11]
	v_fma_f64 v[6:7], v[40:41], s[2:3], v[42:43]
	v_fma_f64 v[26:27], v[40:41], s[0:1], v[42:43]
	v_add_f64 v[42:43], v[10:11], v[50:51]
	v_fma_f64 v[36:37], v[85:86], s[0:1], v[46:47]
	v_fma_f64 v[40:41], v[85:86], s[2:3], v[46:47]
	v_add_f64 v[46:47], v[12:13], v[60:61]
	v_add_f64 v[50:51], v[62:63], v[58:59]
	v_fma_f64 v[52:53], v[38:39], -0.5, v[12:13]
	v_fma_f64 v[38:39], v[48:49], s[2:3], v[44:45]
	v_add_f64 v[10:11], v[42:43], v[54:55]
	v_add_f64 v[54:55], v[62:63], -v[58:59]
	v_add_f64 v[62:63], v[14:15], v[62:63]
	v_add_f64 v[12:13], v[46:47], v[56:57]
	;; [unrolled: 1-line block ×3, first 2 shown]
	v_fma_f64 v[42:43], v[48:49], s[0:1], v[44:45]
	v_fma_f64 v[50:51], v[50:51], -0.5, v[14:15]
	v_add_f64 v[56:57], v[60:61], -v[56:57]
	v_add_f64 v[60:61], v[66:67], -v[75:76]
	v_fma_f64 v[44:45], v[54:55], s[0:1], v[52:53]
	v_fma_f64 v[48:49], v[54:55], s[2:3], v[52:53]
	v_add_f64 v[52:53], v[32:33], v[64:65]
	v_add_f64 v[14:15], v[62:63], v[58:59]
	;; [unrolled: 1-line block ×3, first 2 shown]
	v_fma_f64 v[58:59], v[46:47], -0.5, v[32:33]
	v_add_f64 v[62:63], v[34:35], v[66:67]
	v_fma_f64 v[46:47], v[56:57], s[2:3], v[50:51]
	v_fma_f64 v[50:51], v[56:57], s[0:1], v[50:51]
	v_add_f64 v[66:67], v[68:69], v[81:82]
	v_add_f64 v[32:33], v[52:53], v[72:73]
	v_add_f64 v[64:65], v[64:65], -v[72:73]
	v_fma_f64 v[85:86], v[54:55], -0.5, v[34:35]
	v_fma_f64 v[52:53], v[60:61], s[0:1], v[58:59]
	v_fma_f64 v[56:57], v[60:61], s[2:3], v[58:59]
	v_add_f64 v[60:61], v[16:17], v[68:69]
	v_add_f64 v[34:35], v[62:63], v[75:76]
	;; [unrolled: 1-line block ×3, first 2 shown]
	v_add_f64 v[72:73], v[70:71], -v[83:84]
	v_add_f64 v[70:71], v[18:19], v[70:71]
	v_fma_f64 v[66:67], v[66:67], -0.5, v[16:17]
	v_fma_f64 v[54:55], v[64:65], s[2:3], v[85:86]
	v_fma_f64 v[58:59], v[64:65], s[0:1], v[85:86]
	v_add_f64 v[16:17], v[60:61], v[81:82]
	v_add_f64 v[75:76], v[77:78], v[87:88]
	v_fma_f64 v[85:86], v[62:63], -0.5, v[18:19]
	v_add_f64 v[68:69], v[68:69], -v[81:82]
	v_add_f64 v[81:82], v[20:21], v[77:78]
	v_add_f64 v[18:19], v[70:71], v[83:84]
	;; [unrolled: 1-line block ×3, first 2 shown]
	v_fma_f64 v[60:61], v[72:73], s[0:1], v[66:67]
	v_fma_f64 v[64:65], v[72:73], s[2:3], v[66:67]
	v_fma_f64 v[72:73], v[75:76], -0.5, v[20:21]
	v_add_f64 v[75:76], v[79:80], -v[89:90]
	v_add_f64 v[79:80], v[22:23], v[79:80]
	v_add_f64 v[20:21], v[81:82], v[87:88]
	;; [unrolled: 1-line block ×3, first 2 shown]
	v_fma_f64 v[83:84], v[70:71], -0.5, v[22:23]
	v_add_f64 v[22:23], v[93:94], v[97:98]
	v_fma_f64 v[62:63], v[68:69], s[2:3], v[85:86]
	v_fma_f64 v[66:67], v[68:69], s[0:1], v[85:86]
	;; [unrolled: 1-line block ×4, first 2 shown]
	v_add_f64 v[72:73], v[77:78], -v[87:88]
	v_add_f64 v[85:86], v[28:29], v[91:92]
	v_fma_f64 v[81:82], v[81:82], -0.5, v[28:29]
	v_add_f64 v[87:88], v[93:94], -v[97:98]
	v_add_f64 v[93:94], v[30:31], v[93:94]
	v_fma_f64 v[99:100], v[22:23], -0.5, v[30:31]
	v_add_f64 v[91:92], v[91:92], -v[95:96]
	v_add_f64 v[22:23], v[79:80], v[89:90]
	v_fma_f64 v[70:71], v[72:73], s[2:3], v[83:84]
	v_fma_f64 v[77:78], v[72:73], s[0:1], v[83:84]
	v_add_f64 v[28:29], v[85:86], v[95:96]
	v_fma_f64 v[79:80], v[87:88], s[0:1], v[81:82]
	v_fma_f64 v[83:84], v[87:88], s[2:3], v[81:82]
	;; [unrolled: 3-line block ×3, first 2 shown]
	ds_write_b128 v117, v[0:3]
	ds_write_b128 v117, v[4:7] offset:272
	ds_write_b128 v117, v[24:27] offset:544
	;; [unrolled: 1-line block ×20, first 2 shown]
	s_waitcnt lgkmcnt(0)
	s_barrier
	ds_read_b128 v[0:3], v117
	ds_read_b128 v[4:7], v117 offset:272
	ds_read_b128 v[8:11], v117 offset:1632
	;; [unrolled: 1-line block ×20, first 2 shown]
	buffer_load_dword v101, off, s[60:63], 0 offset:600 ; 4-byte Folded Reload
	buffer_load_dword v102, off, s[60:63], 0 offset:604 ; 4-byte Folded Reload
	;; [unrolled: 1-line block ×8, first 2 shown]
	s_waitcnt lgkmcnt(8)
	v_mul_f64 v[89:90], v[238:239], v[50:51]
	v_mul_f64 v[91:92], v[238:239], v[48:49]
	;; [unrolled: 1-line block ×6, first 2 shown]
	s_mov_b32 s2, 0x37e14327
	s_mov_b32 s0, 0x36b3c0b5
	v_fma_f64 v[48:49], v[236:237], v[48:49], v[89:90]
	v_fma_f64 v[50:51], v[236:237], v[50:51], -v[91:92]
	v_mul_f64 v[89:90], v[246:247], v[42:43]
	v_mul_f64 v[91:92], v[246:247], v[40:41]
	v_fma_f64 v[32:33], v[212:213], v[32:33], v[72:73]
	v_fma_f64 v[34:35], v[212:213], v[34:35], -v[87:88]
	v_mul_f64 v[72:73], v[199:200], v[10:11]
	v_mul_f64 v[87:88], v[199:200], v[8:9]
	v_fma_f64 v[16:17], v[184:185], v[16:17], v[93:94]
	v_fma_f64 v[18:19], v[184:185], v[18:19], -v[95:96]
	v_fma_f64 v[40:41], v[244:245], v[40:41], v[89:90]
	v_fma_f64 v[42:43], v[244:245], v[42:43], -v[91:92]
	v_mul_f64 v[93:94], v[226:227], v[14:15]
	v_mul_f64 v[95:96], v[226:227], v[12:13]
	v_fma_f64 v[8:9], v[197:198], v[8:9], v[72:73]
	v_fma_f64 v[10:11], v[197:198], v[10:11], -v[87:88]
	v_mul_f64 v[72:73], v[210:211], v[26:27]
	v_mul_f64 v[87:88], v[210:211], v[24:25]
	s_mov_b32 s3, 0x3fe948f6
	s_mov_b32 s1, 0x3fac98ee
	v_fma_f64 v[24:25], v[208:209], v[24:25], v[72:73]
	v_fma_f64 v[26:27], v[208:209], v[26:27], -v[87:88]
	v_fma_f64 v[72:73], v[224:225], v[12:13], v[93:94]
	v_fma_f64 v[87:88], v[224:225], v[14:15], -v[95:96]
	v_mul_f64 v[12:13], v[218:219], v[22:23]
	v_mul_f64 v[14:15], v[218:219], v[20:21]
	;; [unrolled: 1-line block ×4, first 2 shown]
	v_fma_f64 v[28:29], v[232:233], v[28:29], v[93:94]
	v_fma_f64 v[30:31], v[232:233], v[30:31], -v[95:96]
	s_waitcnt vmcnt(4) lgkmcnt(4)
	v_mul_f64 v[97:98], v[103:104], v[66:67]
	s_waitcnt vmcnt(0) lgkmcnt(2)
	v_mul_f64 v[89:90], v[107:108], v[77:78]
	v_mul_f64 v[91:92], v[107:108], v[75:76]
	buffer_load_dword v107, off, s[60:63], 0 offset:536 ; 4-byte Folded Reload
	buffer_load_dword v108, off, s[60:63], 0 offset:540 ; 4-byte Folded Reload
	;; [unrolled: 1-line block ×4, first 2 shown]
	v_mul_f64 v[99:100], v[103:104], v[64:65]
	v_fma_f64 v[103:104], v[216:217], v[22:23], -v[14:15]
	v_mul_f64 v[14:15], v[161:162], v[52:53]
	v_fma_f64 v[64:65], v[101:102], v[64:65], v[97:98]
	v_mul_f64 v[97:98], v[222:223], v[58:59]
	v_fma_f64 v[75:76], v[105:106], v[75:76], v[89:90]
	v_fma_f64 v[77:78], v[105:106], v[77:78], -v[91:92]
	v_fma_f64 v[66:67], v[101:102], v[66:67], -v[99:100]
	v_mul_f64 v[99:100], v[222:223], v[56:57]
	v_fma_f64 v[101:102], v[216:217], v[20:21], v[12:13]
	v_mul_f64 v[12:13], v[161:162], v[54:55]
	v_fma_f64 v[56:57], v[220:221], v[56:57], v[97:98]
	v_fma_f64 v[58:59], v[220:221], v[58:59], -v[99:100]
	s_waitcnt vmcnt(0)
	v_mul_f64 v[97:98], v[109:110], v[46:47]
	v_mul_f64 v[99:100], v[109:110], v[44:45]
	buffer_load_dword v109, off, s[60:63], 0 offset:616 ; 4-byte Folded Reload
	buffer_load_dword v110, off, s[60:63], 0 offset:620 ; 4-byte Folded Reload
	;; [unrolled: 1-line block ×4, first 2 shown]
	v_fma_f64 v[89:90], v[107:108], v[44:45], v[97:98]
	v_fma_f64 v[91:92], v[107:108], v[46:47], -v[99:100]
	buffer_load_dword v105, off, s[60:63], 0 offset:552 ; 4-byte Folded Reload
	buffer_load_dword v106, off, s[60:63], 0 offset:556 ; 4-byte Folded Reload
	;; [unrolled: 1-line block ×4, first 2 shown]
	v_mul_f64 v[44:45], v[250:251], v[70:71]
	v_mul_f64 v[46:47], v[250:251], v[68:69]
	v_fma_f64 v[97:98], v[159:160], v[52:53], v[12:13]
	v_fma_f64 v[99:100], v[159:160], v[54:55], -v[14:15]
	s_waitcnt lgkmcnt(0)
	v_mul_f64 v[12:13], v[203:204], v[85:86]
	v_mul_f64 v[14:15], v[203:204], v[83:84]
	v_fma_f64 v[68:69], v[248:249], v[68:69], v[44:45]
	v_fma_f64 v[70:71], v[248:249], v[70:71], -v[46:47]
	v_add_f64 v[44:45], v[48:49], v[16:17]
	v_add_f64 v[46:47], v[50:51], v[18:19]
	v_add_f64 v[16:17], v[16:17], -v[48:49]
	v_add_f64 v[18:19], v[18:19], -v[50:51]
	v_fma_f64 v[83:84], v[201:202], v[83:84], v[12:13]
	v_fma_f64 v[85:86], v[201:202], v[85:86], -v[14:15]
	s_waitcnt vmcnt(4)
	v_mul_f64 v[20:21], v[111:112], v[62:63]
	v_mul_f64 v[22:23], v[111:112], v[60:61]
	v_fma_f64 v[60:61], v[109:110], v[60:61], v[20:21]
	v_fma_f64 v[62:63], v[109:110], v[62:63], -v[22:23]
	v_add_f64 v[20:21], v[32:33], v[24:25]
	v_add_f64 v[22:23], v[34:35], v[26:27]
	v_add_f64 v[24:25], v[32:33], -v[24:25]
	v_add_f64 v[26:27], v[34:35], -v[26:27]
	v_add_f64 v[32:33], v[8:9], v[64:65]
	v_add_f64 v[34:35], v[10:11], v[66:67]
	s_waitcnt vmcnt(0)
	v_mul_f64 v[93:94], v[107:108], v[81:82]
	v_mul_f64 v[95:96], v[107:108], v[79:80]
	v_add_f64 v[8:9], v[8:9], -v[64:65]
	v_add_f64 v[10:11], v[10:11], -v[66:67]
	v_add_f64 v[48:49], v[32:33], v[20:21]
	v_add_f64 v[50:51], v[34:35], v[22:23]
	v_fma_f64 v[79:80], v[105:106], v[79:80], v[93:94]
	v_fma_f64 v[81:82], v[105:106], v[81:82], -v[95:96]
	v_add_f64 v[52:53], v[32:33], -v[20:21]
	v_add_f64 v[54:55], v[34:35], -v[22:23]
	;; [unrolled: 1-line block ×6, first 2 shown]
	v_add_f64 v[64:65], v[16:17], v[8:9]
	v_add_f64 v[66:67], v[18:19], v[10:11]
	v_add_f64 v[93:94], v[16:17], -v[8:9]
	v_add_f64 v[95:96], v[18:19], -v[10:11]
	v_add_f64 v[44:45], v[44:45], v[48:49]
	v_add_f64 v[46:47], v[46:47], v[50:51]
	v_add_f64 v[8:9], v[8:9], -v[24:25]
	v_add_f64 v[10:11], v[10:11], -v[26:27]
	;; [unrolled: 1-line block ×4, first 2 shown]
	v_add_f64 v[24:25], v[64:65], v[24:25]
	v_add_f64 v[26:27], v[66:67], v[26:27]
	;; [unrolled: 1-line block ×4, first 2 shown]
	v_mul_f64 v[20:21], v[20:21], s[2:3]
	v_mul_f64 v[22:23], v[22:23], s[2:3]
	;; [unrolled: 1-line block ×8, first 2 shown]
	v_fma_f64 v[44:45], v[44:45], s[16:17], v[0:1]
	v_fma_f64 v[46:47], v[46:47], s[16:17], v[2:3]
	;; [unrolled: 1-line block ×4, first 2 shown]
	v_fma_f64 v[48:49], v[52:53], s[18:19], -v[48:49]
	v_fma_f64 v[50:51], v[54:55], s[18:19], -v[50:51]
	;; [unrolled: 1-line block ×4, first 2 shown]
	v_fma_f64 v[52:53], v[16:17], s[22:23], v[64:65]
	v_fma_f64 v[54:55], v[18:19], s[22:23], v[66:67]
	v_fma_f64 v[16:17], v[16:17], s[26:27], -v[93:94]
	v_fma_f64 v[18:19], v[18:19], s[26:27], -v[95:96]
	;; [unrolled: 1-line block ×4, first 2 shown]
	v_add_f64 v[32:33], v[32:33], v[44:45]
	v_add_f64 v[34:35], v[34:35], v[46:47]
	;; [unrolled: 1-line block ×6, first 2 shown]
	v_fma_f64 v[64:65], v[26:27], s[24:25], v[18:19]
	v_fma_f64 v[66:67], v[24:25], s[24:25], v[16:17]
	v_fma_f64 v[54:55], v[26:27], s[24:25], v[54:55]
	v_fma_f64 v[52:53], v[24:25], s[24:25], v[52:53]
	v_fma_f64 v[20:21], v[26:27], s[24:25], v[10:11]
	v_fma_f64 v[22:23], v[24:25], s[24:25], v[8:9]
	v_add_f64 v[12:13], v[64:65], v[44:45]
	v_add_f64 v[14:15], v[46:47], -v[66:67]
	v_add_f64 v[24:25], v[44:45], -v[64:65]
	v_add_f64 v[26:27], v[66:67], v[46:47]
	v_add_f64 v[44:45], v[40:41], v[28:29]
	;; [unrolled: 1-line block ×3, first 2 shown]
	v_add_f64 v[28:29], v[40:41], -v[28:29]
	v_add_f64 v[30:31], v[42:43], -v[30:31]
	v_add_f64 v[40:41], v[72:73], v[75:76]
	v_add_f64 v[42:43], v[87:88], v[77:78]
	v_add_f64 v[16:17], v[48:49], -v[20:21]
	v_add_f64 v[18:19], v[22:23], v[50:51]
	v_add_f64 v[20:21], v[20:21], v[48:49]
	v_add_f64 v[22:23], v[50:51], -v[22:23]
	v_add_f64 v[48:49], v[72:73], -v[75:76]
	;; [unrolled: 1-line block ×3, first 2 shown]
	v_add_f64 v[64:65], v[56:57], v[101:102]
	v_add_f64 v[66:67], v[58:59], v[103:104]
	v_add_f64 v[56:57], v[101:102], -v[56:57]
	v_add_f64 v[58:59], v[103:104], -v[58:59]
	v_add_f64 v[72:73], v[40:41], v[44:45]
	v_add_f64 v[75:76], v[42:43], v[46:47]
	v_add_f64 v[77:78], v[40:41], -v[44:45]
	v_add_f64 v[87:88], v[42:43], -v[46:47]
	v_add_f64 v[44:45], v[44:45], -v[64:65]
	v_add_f64 v[46:47], v[46:47], -v[66:67]
	v_add_f64 v[40:41], v[64:65], -v[40:41]
	v_add_f64 v[42:43], v[66:67], -v[42:43]
	v_add_f64 v[93:94], v[56:57], v[48:49]
	v_add_f64 v[95:96], v[58:59], v[50:51]
	v_add_f64 v[101:102], v[56:57], -v[48:49]
	v_add_f64 v[103:104], v[58:59], -v[50:51]
	v_add_f64 v[64:65], v[64:65], v[72:73]
	v_add_f64 v[66:67], v[66:67], v[75:76]
	v_add_f64 v[48:49], v[48:49], -v[28:29]
	v_add_f64 v[50:51], v[50:51], -v[30:31]
	;; [unrolled: 1-line block ×4, first 2 shown]
	v_add_f64 v[28:29], v[93:94], v[28:29]
	v_add_f64 v[30:31], v[95:96], v[30:31]
	;; [unrolled: 1-line block ×4, first 2 shown]
	v_mul_f64 v[44:45], v[44:45], s[2:3]
	v_mul_f64 v[46:47], v[46:47], s[2:3]
	;; [unrolled: 1-line block ×8, first 2 shown]
	v_fma_f64 v[64:65], v[64:65], s[16:17], v[4:5]
	v_fma_f64 v[66:67], v[66:67], s[16:17], v[6:7]
	v_fma_f64 v[40:41], v[40:41], s[0:1], v[44:45]
	v_fma_f64 v[42:43], v[42:43], s[0:1], v[46:47]
	v_fma_f64 v[72:73], v[77:78], s[18:19], -v[72:73]
	v_fma_f64 v[75:76], v[87:88], s[18:19], -v[75:76]
	;; [unrolled: 1-line block ×4, first 2 shown]
	v_fma_f64 v[77:78], v[56:57], s[22:23], v[93:94]
	v_fma_f64 v[87:88], v[58:59], s[22:23], v[95:96]
	v_fma_f64 v[48:49], v[48:49], s[4:5], -v[93:94]
	v_fma_f64 v[50:51], v[50:51], s[4:5], -v[95:96]
	;; [unrolled: 1-line block ×4, first 2 shown]
	v_add_f64 v[93:94], v[40:41], v[64:65]
	v_add_f64 v[95:96], v[42:43], v[66:67]
	;; [unrolled: 1-line block ×6, first 2 shown]
	v_fma_f64 v[56:57], v[28:29], s[24:25], v[56:57]
	v_fma_f64 v[58:59], v[30:31], s[24:25], v[58:59]
	;; [unrolled: 1-line block ×4, first 2 shown]
	v_add_f64 v[8:9], v[54:55], v[32:33]
	v_add_f64 v[10:11], v[34:35], -v[52:53]
	v_fma_f64 v[87:88], v[30:31], s[24:25], v[87:88]
	v_fma_f64 v[77:78], v[28:29], s[24:25], v[77:78]
	v_add_f64 v[28:29], v[32:33], -v[54:55]
	v_add_f64 v[30:31], v[52:53], v[34:35]
	v_add_f64 v[40:41], v[58:59], v[64:65]
	v_add_f64 v[42:43], v[66:67], -v[56:57]
	v_add_f64 v[44:45], v[72:73], -v[50:51]
	v_add_f64 v[46:47], v[101:102], v[75:76]
	v_add_f64 v[48:49], v[50:51], v[72:73]
	v_add_f64 v[50:51], v[75:76], -v[101:102]
	v_add_f64 v[52:53], v[64:65], -v[58:59]
	v_add_f64 v[54:55], v[56:57], v[66:67]
	v_add_f64 v[56:57], v[89:90], v[83:84]
	;; [unrolled: 1-line block ×5, first 2 shown]
	v_add_f64 v[64:65], v[89:90], -v[83:84]
	v_add_f64 v[66:67], v[91:92], -v[85:86]
	;; [unrolled: 1-line block ×4, first 2 shown]
	v_add_f64 v[83:84], v[60:61], v[68:69]
	v_add_f64 v[85:86], v[62:63], v[70:71]
	v_add_f64 v[60:61], v[68:69], -v[60:61]
	v_add_f64 v[62:63], v[70:71], -v[62:63]
	v_add_f64 v[68:69], v[72:73], v[56:57]
	v_add_f64 v[70:71], v[75:76], v[58:59]
	v_add_f64 v[89:90], v[72:73], -v[56:57]
	v_add_f64 v[91:92], v[75:76], -v[58:59]
	;; [unrolled: 1-line block ×6, first 2 shown]
	v_add_f64 v[97:98], v[60:61], v[79:80]
	v_add_f64 v[99:100], v[62:63], v[81:82]
	v_add_f64 v[101:102], v[60:61], -v[79:80]
	v_add_f64 v[103:104], v[62:63], -v[81:82]
	v_add_f64 v[68:69], v[83:84], v[68:69]
	v_add_f64 v[70:71], v[85:86], v[70:71]
	v_add_f64 v[79:80], v[79:80], -v[64:65]
	v_add_f64 v[81:82], v[81:82], -v[66:67]
	v_add_f64 v[60:61], v[64:65], -v[60:61]
	v_add_f64 v[62:63], v[66:67], -v[62:63]
	v_add_f64 v[64:65], v[97:98], v[64:65]
	v_add_f64 v[66:67], v[99:100], v[66:67]
	;; [unrolled: 1-line block ×4, first 2 shown]
	v_mul_f64 v[56:57], v[56:57], s[2:3]
	v_mul_f64 v[58:59], v[58:59], s[2:3]
	v_mul_f64 v[83:84], v[72:73], s[0:1]
	v_mul_f64 v[85:86], v[75:76], s[0:1]
	v_mul_f64 v[97:98], v[101:102], s[12:13]
	v_mul_f64 v[99:100], v[103:104], s[12:13]
	v_mul_f64 v[101:102], v[79:80], s[4:5]
	v_mul_f64 v[103:104], v[81:82], s[4:5]
	v_fma_f64 v[68:69], v[68:69], s[16:17], v[36:37]
	v_fma_f64 v[70:71], v[70:71], s[16:17], v[38:39]
	;; [unrolled: 1-line block ×4, first 2 shown]
	v_fma_f64 v[83:84], v[89:90], s[18:19], -v[83:84]
	v_fma_f64 v[85:86], v[91:92], s[18:19], -v[85:86]
	v_fma_f64 v[56:57], v[89:90], s[20:21], -v[56:57]
	v_fma_f64 v[58:59], v[91:92], s[20:21], -v[58:59]
	v_fma_f64 v[89:90], v[60:61], s[22:23], v[97:98]
	v_fma_f64 v[91:92], v[62:63], s[22:23], v[99:100]
	v_fma_f64 v[79:80], v[79:80], s[4:5], -v[97:98]
	v_fma_f64 v[81:82], v[81:82], s[4:5], -v[99:100]
	;; [unrolled: 1-line block ×4, first 2 shown]
	v_add_f64 v[72:73], v[72:73], v[68:69]
	v_add_f64 v[97:98], v[75:76], v[70:71]
	;; [unrolled: 1-line block ×6, first 2 shown]
	v_fma_f64 v[91:92], v[66:67], s[24:25], v[91:92]
	v_fma_f64 v[89:90], v[64:65], s[24:25], v[89:90]
	;; [unrolled: 1-line block ×6, first 2 shown]
	v_add_f64 v[32:33], v[87:88], v[93:94]
	v_add_f64 v[34:35], v[95:96], -v[77:78]
	v_add_f64 v[56:57], v[93:94], -v[87:88]
	v_add_f64 v[58:59], v[77:78], v[95:96]
	v_add_f64 v[60:61], v[91:92], v[72:73]
	v_add_f64 v[62:63], v[97:98], -v[89:90]
	v_add_f64 v[64:65], v[101:102], v[85:86]
	v_add_f64 v[66:67], v[99:100], -v[103:104]
	v_add_f64 v[68:69], v[75:76], -v[81:82]
	v_add_f64 v[70:71], v[79:80], v[83:84]
	v_add_f64 v[75:76], v[81:82], v[75:76]
	v_add_f64 v[77:78], v[83:84], -v[79:80]
	v_add_f64 v[79:80], v[85:86], -v[101:102]
	v_add_f64 v[81:82], v[103:104], v[99:100]
	v_add_f64 v[83:84], v[72:73], -v[91:92]
	v_add_f64 v[85:86], v[89:90], v[97:98]
	ds_write_b128 v117, v[0:3]
	ds_write_b128 v117, v[8:11] offset:816
	ds_write_b128 v117, v[12:15] offset:1632
	ds_write_b128 v117, v[16:19] offset:2448
	ds_write_b128 v117, v[20:23] offset:3264
	ds_write_b128 v117, v[24:27] offset:4080
	ds_write_b128 v117, v[28:31] offset:4896
	ds_write_b128 v117, v[4:7] offset:272
	ds_write_b128 v205, v[32:35] offset:816
	ds_write_b128 v205, v[40:43] offset:1632
	ds_write_b128 v205, v[44:47] offset:2448
	ds_write_b128 v205, v[48:51] offset:3264
	ds_write_b128 v205, v[52:55] offset:4080
	ds_write_b128 v205, v[56:59] offset:4896
	ds_write_b128 v117, v[36:39] offset:544
	ds_write_b128 v119, v[60:63] offset:816
	ds_write_b128 v119, v[64:67] offset:1632
	ds_write_b128 v119, v[68:71] offset:2448
	ds_write_b128 v119, v[75:78] offset:3264
	ds_write_b128 v119, v[79:82] offset:4080
	ds_write_b128 v119, v[83:86] offset:4896
	s_waitcnt lgkmcnt(0)
	s_barrier
	ds_read_b128 v[0:3], v117
	buffer_load_dword v4, off, s[60:63], 0 offset:496 ; 4-byte Folded Reload
	buffer_load_dword v5, off, s[60:63], 0 offset:500 ; 4-byte Folded Reload
	s_mov_b32 s2, 0x16f26017
	s_mov_b32 s3, 0x3f66f260
	s_waitcnt vmcnt(1)
	v_mov_b32_e32 v14, v4
	s_waitcnt vmcnt(0)
	ds_read_b128 v[4:7], v117 offset:336
	buffer_load_dword v16, off, s[60:63], 0 offset:348 ; 4-byte Folded Reload
	buffer_load_dword v17, off, s[60:63], 0 offset:352 ; 4-byte Folded Reload
	;; [unrolled: 1-line block ×4, first 2 shown]
	v_mad_u64_u32 v[12:13], s[0:1], s10, v14, 0
	v_mad_u64_u32 v[13:14], s[0:1], s11, v14, v[13:14]
	;; [unrolled: 1-line block ×3, first 2 shown]
	s_waitcnt vmcnt(0) lgkmcnt(1)
	v_mul_f64 v[8:9], v[18:19], v[2:3]
	v_mul_f64 v[10:11], v[18:19], v[0:1]
	buffer_load_dword v18, off, s[60:63], 0 offset:412 ; 4-byte Folded Reload
	buffer_load_dword v19, off, s[60:63], 0 offset:416 ; 4-byte Folded Reload
	;; [unrolled: 1-line block ×4, first 2 shown]
	v_fma_f64 v[0:1], v[16:17], v[0:1], v[8:9]
	v_mov_b32_e32 v8, v15
	v_fma_f64 v[2:3], v[16:17], v[2:3], -v[10:11]
	v_mad_u64_u32 v[15:16], s[0:1], s9, v146, v[8:9]
	v_mul_f64 v[8:9], v[0:1], s[2:3]
	v_lshlrev_b64 v[0:1], 4, v[12:13]
	v_mul_f64 v[10:11], v[2:3], s[2:3]
	v_mov_b32_e32 v3, s15
	v_add_co_u32_e64 v2, s[0:1], s14, v0
	v_addc_co_u32_e64 v3, s[0:1], v3, v1, s[0:1]
	v_lshlrev_b64 v[0:1], 4, v[14:15]
	v_add_co_u32_e64 v0, s[0:1], v2, v0
	v_addc_co_u32_e64 v1, s[0:1], v3, v1, s[0:1]
	global_store_dwordx4 v[0:1], v[8:11], off
	s_mul_i32 s0, s9, 21
	s_mul_hi_u32 s1, s8, 21
	s_add_i32 s1, s1, s0
	s_mul_i32 s0, s8, 21
	s_lshl_b64 s[4:5], s[0:1], 4
	v_mov_b32_e32 v28, s5
	v_add_co_u32_e64 v0, s[0:1], s4, v0
	v_addc_co_u32_e64 v1, s[0:1], v1, v28, s[0:1]
	s_waitcnt vmcnt(1) lgkmcnt(0)
	v_mul_f64 v[12:13], v[20:21], v[6:7]
	v_mul_f64 v[16:17], v[20:21], v[4:5]
	v_fma_f64 v[12:13], v[18:19], v[4:5], v[12:13]
	v_fma_f64 v[14:15], v[18:19], v[6:7], -v[16:17]
	ds_read_b128 v[4:7], v117 offset:672
	v_mul_f64 v[8:9], v[12:13], s[2:3]
	v_mul_f64 v[10:11], v[14:15], s[2:3]
	ds_read_b128 v[12:15], v117 offset:1008
	buffer_load_dword v20, off, s[60:63], 0 offset:316 ; 4-byte Folded Reload
	buffer_load_dword v21, off, s[60:63], 0 offset:320 ; 4-byte Folded Reload
	;; [unrolled: 1-line block ×4, first 2 shown]
	s_waitcnt vmcnt(0) lgkmcnt(1)
	v_mul_f64 v[16:17], v[22:23], v[6:7]
	v_mul_f64 v[18:19], v[22:23], v[4:5]
	v_fma_f64 v[4:5], v[20:21], v[4:5], v[16:17]
	v_fma_f64 v[6:7], v[20:21], v[6:7], -v[18:19]
	buffer_load_dword v20, off, s[60:63], 0 offset:332 ; 4-byte Folded Reload
	buffer_load_dword v21, off, s[60:63], 0 offset:336 ; 4-byte Folded Reload
	;; [unrolled: 1-line block ×4, first 2 shown]
	v_mul_f64 v[4:5], v[4:5], s[2:3]
	global_store_dwordx4 v[0:1], v[8:11], off
	ds_read_b128 v[8:11], v117 offset:1344
	v_mul_f64 v[6:7], v[6:7], s[2:3]
	v_add_co_u32_e64 v0, s[0:1], s4, v0
	v_addc_co_u32_e64 v1, s[0:1], v1, v28, s[0:1]
	s_waitcnt vmcnt(1) lgkmcnt(1)
	v_mul_f64 v[16:17], v[22:23], v[14:15]
	v_mul_f64 v[18:19], v[22:23], v[12:13]
	v_fma_f64 v[16:17], v[20:21], v[12:13], v[16:17]
	v_fma_f64 v[18:19], v[20:21], v[14:15], -v[18:19]
	ds_read_b128 v[12:15], v117 offset:1680
	buffer_load_dword v24, off, s[60:63], 0 offset:284 ; 4-byte Folded Reload
	buffer_load_dword v25, off, s[60:63], 0 offset:288 ; 4-byte Folded Reload
	;; [unrolled: 1-line block ×4, first 2 shown]
	s_waitcnt vmcnt(0) lgkmcnt(1)
	v_mul_f64 v[20:21], v[26:27], v[10:11]
	v_mul_f64 v[22:23], v[26:27], v[8:9]
	global_store_dwordx4 v[0:1], v[4:7], off
	v_add_co_u32_e64 v0, s[0:1], s4, v0
	v_mul_f64 v[4:5], v[16:17], s[2:3]
	v_mul_f64 v[6:7], v[18:19], s[2:3]
	v_addc_co_u32_e64 v1, s[0:1], v1, v28, s[0:1]
	v_fma_f64 v[8:9], v[24:25], v[8:9], v[20:21]
	v_fma_f64 v[16:17], v[24:25], v[10:11], -v[22:23]
	buffer_load_dword v22, off, s[60:63], 0 offset:268 ; 4-byte Folded Reload
	buffer_load_dword v23, off, s[60:63], 0 offset:272 ; 4-byte Folded Reload
	buffer_load_dword v24, off, s[60:63], 0 offset:276 ; 4-byte Folded Reload
	buffer_load_dword v25, off, s[60:63], 0 offset:280 ; 4-byte Folded Reload
	s_waitcnt vmcnt(0) lgkmcnt(0)
	v_mul_f64 v[18:19], v[24:25], v[14:15]
	v_mul_f64 v[20:21], v[24:25], v[12:13]
	global_store_dwordx4 v[0:1], v[4:7], off
	v_add_co_u32_e64 v0, s[0:1], s4, v0
	v_mul_f64 v[4:5], v[8:9], s[2:3]
	ds_read_b128 v[8:11], v117 offset:2016
	v_mul_f64 v[6:7], v[16:17], s[2:3]
	v_fma_f64 v[16:17], v[22:23], v[12:13], v[18:19]
	v_fma_f64 v[18:19], v[22:23], v[14:15], -v[20:21]
	ds_read_b128 v[12:15], v117 offset:2352
	buffer_load_dword v24, off, s[60:63], 0 offset:252 ; 4-byte Folded Reload
	buffer_load_dword v25, off, s[60:63], 0 offset:256 ; 4-byte Folded Reload
	buffer_load_dword v26, off, s[60:63], 0 offset:260 ; 4-byte Folded Reload
	buffer_load_dword v27, off, s[60:63], 0 offset:264 ; 4-byte Folded Reload
	v_addc_co_u32_e64 v1, s[0:1], v1, v28, s[0:1]
	global_store_dwordx4 v[0:1], v[4:7], off
	s_nop 0
	v_mul_f64 v[4:5], v[16:17], s[2:3]
	v_mul_f64 v[6:7], v[18:19], s[2:3]
	v_add_co_u32_e64 v0, s[0:1], s4, v0
	v_addc_co_u32_e64 v1, s[0:1], v1, v28, s[0:1]
	s_waitcnt vmcnt(1) lgkmcnt(1)
	v_mul_f64 v[20:21], v[26:27], v[10:11]
	v_mul_f64 v[22:23], v[26:27], v[8:9]
	v_fma_f64 v[8:9], v[24:25], v[8:9], v[20:21]
	v_fma_f64 v[16:17], v[24:25], v[10:11], -v[22:23]
	buffer_load_dword v22, off, s[60:63], 0 offset:236 ; 4-byte Folded Reload
	buffer_load_dword v23, off, s[60:63], 0 offset:240 ; 4-byte Folded Reload
	buffer_load_dword v24, off, s[60:63], 0 offset:244 ; 4-byte Folded Reload
	buffer_load_dword v25, off, s[60:63], 0 offset:248 ; 4-byte Folded Reload
	s_waitcnt vmcnt(0) lgkmcnt(0)
	v_mul_f64 v[18:19], v[24:25], v[14:15]
	v_mul_f64 v[20:21], v[24:25], v[12:13]
	global_store_dwordx4 v[0:1], v[4:7], off
	v_add_co_u32_e64 v0, s[0:1], s4, v0
	v_mul_f64 v[4:5], v[8:9], s[2:3]
	ds_read_b128 v[8:11], v117 offset:2688
	v_mul_f64 v[6:7], v[16:17], s[2:3]
	v_fma_f64 v[16:17], v[22:23], v[12:13], v[18:19]
	v_fma_f64 v[18:19], v[22:23], v[14:15], -v[20:21]
	ds_read_b128 v[12:15], v117 offset:3024
	buffer_load_dword v24, off, s[60:63], 0 offset:220 ; 4-byte Folded Reload
	buffer_load_dword v25, off, s[60:63], 0 offset:224 ; 4-byte Folded Reload
	buffer_load_dword v26, off, s[60:63], 0 offset:228 ; 4-byte Folded Reload
	buffer_load_dword v27, off, s[60:63], 0 offset:232 ; 4-byte Folded Reload
	v_addc_co_u32_e64 v1, s[0:1], v1, v28, s[0:1]
	global_store_dwordx4 v[0:1], v[4:7], off
	s_nop 0
	v_mul_f64 v[4:5], v[16:17], s[2:3]
	v_mul_f64 v[6:7], v[18:19], s[2:3]
	v_add_co_u32_e64 v0, s[0:1], s4, v0
	v_addc_co_u32_e64 v1, s[0:1], v1, v28, s[0:1]
	s_waitcnt vmcnt(1) lgkmcnt(1)
	v_mul_f64 v[20:21], v[26:27], v[10:11]
	v_mul_f64 v[22:23], v[26:27], v[8:9]
	;; [unrolled: 31-line block ×4, first 2 shown]
	v_fma_f64 v[8:9], v[24:25], v[8:9], v[20:21]
	v_fma_f64 v[16:17], v[24:25], v[10:11], -v[22:23]
	buffer_load_dword v22, off, s[60:63], 0 offset:444 ; 4-byte Folded Reload
	buffer_load_dword v23, off, s[60:63], 0 offset:448 ; 4-byte Folded Reload
	;; [unrolled: 1-line block ×4, first 2 shown]
	s_waitcnt vmcnt(0) lgkmcnt(0)
	v_mul_f64 v[18:19], v[24:25], v[14:15]
	v_mul_f64 v[20:21], v[24:25], v[12:13]
	global_store_dwordx4 v[0:1], v[4:7], off
	v_add_co_u32_e64 v0, s[0:1], s4, v0
	v_mul_f64 v[4:5], v[8:9], s[2:3]
	v_mul_f64 v[6:7], v[16:17], s[2:3]
	ds_read_b128 v[8:11], v117 offset:4704
	v_fma_f64 v[16:17], v[22:23], v[12:13], v[18:19]
	v_fma_f64 v[18:19], v[22:23], v[14:15], -v[20:21]
	ds_read_b128 v[12:15], v117 offset:5040
	buffer_load_dword v24, off, s[60:63], 0 offset:300 ; 4-byte Folded Reload
	buffer_load_dword v25, off, s[60:63], 0 offset:304 ; 4-byte Folded Reload
	;; [unrolled: 1-line block ×4, first 2 shown]
	v_addc_co_u32_e64 v1, s[0:1], v1, v28, s[0:1]
	global_store_dwordx4 v[0:1], v[4:7], off
	v_add_co_u32_e64 v0, s[0:1], s4, v0
	v_mul_f64 v[4:5], v[16:17], s[2:3]
	v_mul_f64 v[6:7], v[18:19], s[2:3]
	ds_read_b128 v[16:19], v117 offset:5376
	buffer_load_dword v29, off, s[60:63], 0 offset:396 ; 4-byte Folded Reload
	buffer_load_dword v30, off, s[60:63], 0 offset:400 ; 4-byte Folded Reload
	;; [unrolled: 1-line block ×4, first 2 shown]
	v_addc_co_u32_e64 v1, s[0:1], v1, v28, s[0:1]
	s_waitcnt vmcnt(5) lgkmcnt(2)
	v_mul_f64 v[20:21], v[26:27], v[10:11]
	v_mul_f64 v[22:23], v[26:27], v[8:9]
	v_fma_f64 v[8:9], v[24:25], v[8:9], v[20:21]
	v_fma_f64 v[10:11], v[24:25], v[10:11], -v[22:23]
	s_waitcnt vmcnt(0) lgkmcnt(1)
	v_mul_f64 v[20:21], v[31:32], v[14:15]
	v_mul_f64 v[22:23], v[31:32], v[12:13]
	buffer_load_dword v31, off, s[60:63], 0 offset:428 ; 4-byte Folded Reload
	buffer_load_dword v32, off, s[60:63], 0 offset:432 ; 4-byte Folded Reload
	;; [unrolled: 1-line block ×4, first 2 shown]
	s_waitcnt vmcnt(0) lgkmcnt(0)
	v_mul_f64 v[24:25], v[33:34], v[18:19]
	v_mul_f64 v[26:27], v[33:34], v[16:17]
	global_store_dwordx4 v[0:1], v[4:7], off
	v_add_co_u32_e64 v0, s[0:1], s4, v0
	v_mul_f64 v[4:5], v[8:9], s[2:3]
	v_mul_f64 v[6:7], v[10:11], s[2:3]
	v_fma_f64 v[8:9], v[29:30], v[12:13], v[20:21]
	v_fma_f64 v[10:11], v[29:30], v[14:15], -v[22:23]
	v_fma_f64 v[12:13], v[31:32], v[16:17], v[24:25]
	v_fma_f64 v[14:15], v[31:32], v[18:19], -v[26:27]
	v_addc_co_u32_e64 v1, s[0:1], v1, v28, s[0:1]
	global_store_dwordx4 v[0:1], v[4:7], off
	v_mul_f64 v[8:9], v[8:9], s[2:3]
	v_mul_f64 v[10:11], v[10:11], s[2:3]
	;; [unrolled: 1-line block ×4, first 2 shown]
	v_add_co_u32_e64 v0, s[0:1], s4, v0
	v_addc_co_u32_e64 v1, s[0:1], v1, v28, s[0:1]
	global_store_dwordx4 v[0:1], v[8:11], off
	v_add_co_u32_e64 v0, s[0:1], s4, v0
	v_addc_co_u32_e64 v1, s[0:1], v1, v28, s[0:1]
	global_store_dwordx4 v[0:1], v[4:7], off
	s_and_b64 exec, exec, vcc
	s_cbranch_execz .LBB0_15
; %bb.14:
	buffer_load_dword v20, off, s[60:63], 0 offset:196 ; 4-byte Folded Reload
	buffer_load_dword v21, off, s[60:63], 0 offset:200 ; 4-byte Folded Reload
	s_waitcnt vmcnt(0)
	global_load_dwordx4 v[4:7], v[20:21], off offset:272
	ds_read_b128 v[8:11], v117 offset:272
	ds_read_b128 v[12:15], v117 offset:608
	s_waitcnt vmcnt(0) lgkmcnt(1)
	v_mul_f64 v[16:17], v[10:11], v[6:7]
	v_mul_f64 v[6:7], v[8:9], v[6:7]
	v_fma_f64 v[8:9], v[8:9], v[4:5], v[16:17]
	v_fma_f64 v[6:7], v[4:5], v[10:11], -v[6:7]
	v_mul_f64 v[4:5], v[8:9], s[2:3]
	v_mul_f64 v[6:7], v[6:7], s[2:3]
	v_mov_b32_e32 v8, 0xffffec10
	v_mad_u64_u32 v[8:9], s[0:1], s8, v8, v[0:1]
	s_mul_i32 s0, s9, 0xffffec10
	s_sub_i32 s0, s0, s8
	v_add_u32_e32 v9, s0, v9
	v_add_co_u32_e32 v16, vcc, s4, v8
	global_store_dwordx4 v[8:9], v[4:7], off
	global_load_dwordx4 v[4:7], v[20:21], off offset:608
	s_waitcnt vmcnt(0) lgkmcnt(0)
	v_mul_f64 v[0:1], v[14:15], v[6:7]
	v_mul_f64 v[6:7], v[12:13], v[6:7]
	v_fma_f64 v[0:1], v[12:13], v[4:5], v[0:1]
	v_fma_f64 v[6:7], v[4:5], v[14:15], -v[6:7]
	v_mul_f64 v[4:5], v[0:1], s[2:3]
	v_mul_f64 v[6:7], v[6:7], s[2:3]
	v_mov_b32_e32 v0, s5
	v_addc_co_u32_e32 v17, vcc, v9, v0, vcc
	s_mul_hi_u32 s5, s8, 0x2a0
	global_store_dwordx4 v[16:17], v[4:7], off
	global_load_dwordx4 v[4:7], v[20:21], off offset:944
	ds_read_b128 v[8:11], v117 offset:944
	ds_read_b128 v[12:15], v117 offset:1280
	v_add_co_u32_e32 v16, vcc, s4, v16
	v_addc_co_u32_e32 v17, vcc, v17, v0, vcc
	s_waitcnt vmcnt(0) lgkmcnt(1)
	v_mul_f64 v[18:19], v[10:11], v[6:7]
	v_mul_f64 v[6:7], v[8:9], v[6:7]
	v_fma_f64 v[8:9], v[8:9], v[4:5], v[18:19]
	v_fma_f64 v[6:7], v[4:5], v[10:11], -v[6:7]
	v_or_b32_e32 v18, 0x50, v146
	v_mad_u64_u32 v[10:11], s[0:1], s8, v18, 0
	v_mov_b32_e32 v1, v11
	v_mul_f64 v[4:5], v[8:9], s[2:3]
	v_mul_f64 v[6:7], v[6:7], s[2:3]
	global_store_dwordx4 v[16:17], v[4:7], off
	global_load_dwordx4 v[4:7], v[20:21], off offset:1280
	s_waitcnt vmcnt(0) lgkmcnt(0)
	v_mul_f64 v[8:9], v[14:15], v[6:7]
	v_mul_f64 v[6:7], v[12:13], v[6:7]
	v_fma_f64 v[8:9], v[12:13], v[4:5], v[8:9]
	v_fma_f64 v[6:7], v[4:5], v[14:15], -v[6:7]
	v_mad_u64_u32 v[11:12], s[0:1], s9, v18, v[1:2]
	s_mul_i32 s1, s9, 0x2a0
	s_mul_i32 s0, s8, 0x2a0
	s_add_i32 s1, s5, s1
	v_mov_b32_e32 v1, s1
	v_mul_f64 v[4:5], v[8:9], s[2:3]
	v_mul_f64 v[6:7], v[6:7], s[2:3]
	v_lshlrev_b64 v[8:9], 4, v[10:11]
	s_movk_i32 s5, 0x1000
	v_add_co_u32_e32 v8, vcc, v2, v8
	v_addc_co_u32_e32 v9, vcc, v3, v9, vcc
	global_store_dwordx4 v[8:9], v[4:7], off
	global_load_dwordx4 v[4:7], v[20:21], off offset:1616
	ds_read_b128 v[8:11], v117 offset:1616
	ds_read_b128 v[12:15], v117 offset:1952
	s_waitcnt vmcnt(0) lgkmcnt(1)
	v_mul_f64 v[18:19], v[10:11], v[6:7]
	v_mul_f64 v[6:7], v[8:9], v[6:7]
	v_fma_f64 v[8:9], v[8:9], v[4:5], v[18:19]
	v_fma_f64 v[6:7], v[4:5], v[10:11], -v[6:7]
	v_mul_f64 v[4:5], v[8:9], s[2:3]
	v_mul_f64 v[6:7], v[6:7], s[2:3]
	v_add_co_u32_e32 v8, vcc, s0, v16
	v_addc_co_u32_e32 v9, vcc, v17, v1, vcc
	v_add_co_u32_e32 v16, vcc, s4, v8
	v_addc_co_u32_e32 v17, vcc, v9, v0, vcc
	global_store_dwordx4 v[8:9], v[4:7], off
	global_load_dwordx4 v[4:7], v[20:21], off offset:1952
	s_waitcnt vmcnt(0) lgkmcnt(0)
	v_mul_f64 v[10:11], v[14:15], v[6:7]
	v_mul_f64 v[6:7], v[12:13], v[6:7]
	v_fma_f64 v[10:11], v[12:13], v[4:5], v[10:11]
	v_fma_f64 v[6:7], v[4:5], v[14:15], -v[6:7]
	v_mul_f64 v[4:5], v[10:11], s[2:3]
	v_mul_f64 v[6:7], v[6:7], s[2:3]
	global_store_dwordx4 v[16:17], v[4:7], off
	global_load_dwordx4 v[4:7], v[20:21], off offset:2288
	ds_read_b128 v[8:11], v117 offset:2288
	ds_read_b128 v[12:15], v117 offset:2624
	v_add_co_u32_e32 v16, vcc, s4, v16
	v_addc_co_u32_e32 v17, vcc, v17, v0, vcc
	s_waitcnt vmcnt(0) lgkmcnt(1)
	v_mul_f64 v[18:19], v[10:11], v[6:7]
	v_mul_f64 v[6:7], v[8:9], v[6:7]
	v_fma_f64 v[8:9], v[8:9], v[4:5], v[18:19]
	v_fma_f64 v[6:7], v[4:5], v[10:11], -v[6:7]
	v_or_b32_e32 v18, 0xa4, v146
	v_mad_u64_u32 v[10:11], s[10:11], s8, v18, 0
	v_mov_b32_e32 v1, v11
	v_mul_f64 v[4:5], v[8:9], s[2:3]
	v_mul_f64 v[6:7], v[6:7], s[2:3]
	global_store_dwordx4 v[16:17], v[4:7], off
	global_load_dwordx4 v[4:7], v[20:21], off offset:2624
	s_waitcnt vmcnt(0) lgkmcnt(0)
	v_mul_f64 v[8:9], v[14:15], v[6:7]
	v_mul_f64 v[6:7], v[12:13], v[6:7]
	v_fma_f64 v[8:9], v[12:13], v[4:5], v[8:9]
	v_fma_f64 v[6:7], v[4:5], v[14:15], -v[6:7]
	v_mad_u64_u32 v[11:12], s[10:11], s9, v18, v[1:2]
	v_mov_b32_e32 v1, s1
	v_mul_f64 v[4:5], v[8:9], s[2:3]
	v_mul_f64 v[6:7], v[6:7], s[2:3]
	v_lshlrev_b64 v[8:9], 4, v[10:11]
	v_add_co_u32_e32 v8, vcc, v2, v8
	v_addc_co_u32_e32 v9, vcc, v3, v9, vcc
	global_store_dwordx4 v[8:9], v[4:7], off
	global_load_dwordx4 v[4:7], v[20:21], off offset:2960
	ds_read_b128 v[8:11], v117 offset:2960
	ds_read_b128 v[12:15], v117 offset:3296
	s_waitcnt vmcnt(0) lgkmcnt(1)
	v_mul_f64 v[18:19], v[10:11], v[6:7]
	v_mul_f64 v[6:7], v[8:9], v[6:7]
	v_fma_f64 v[8:9], v[8:9], v[4:5], v[18:19]
	v_fma_f64 v[6:7], v[4:5], v[10:11], -v[6:7]
	v_mul_f64 v[4:5], v[8:9], s[2:3]
	v_mul_f64 v[6:7], v[6:7], s[2:3]
	v_add_co_u32_e32 v8, vcc, s0, v16
	v_addc_co_u32_e32 v9, vcc, v17, v1, vcc
	v_add_co_u32_e32 v16, vcc, s4, v8
	v_addc_co_u32_e32 v17, vcc, v9, v0, vcc
	global_store_dwordx4 v[8:9], v[4:7], off
	global_load_dwordx4 v[4:7], v[20:21], off offset:3296
	s_waitcnt vmcnt(0) lgkmcnt(0)
	v_mul_f64 v[10:11], v[14:15], v[6:7]
	v_mul_f64 v[6:7], v[12:13], v[6:7]
	v_fma_f64 v[10:11], v[12:13], v[4:5], v[10:11]
	v_fma_f64 v[6:7], v[4:5], v[14:15], -v[6:7]
	v_mul_f64 v[4:5], v[10:11], s[2:3]
	v_mul_f64 v[6:7], v[6:7], s[2:3]
	global_store_dwordx4 v[16:17], v[4:7], off
	global_load_dwordx4 v[4:7], v[20:21], off offset:3632
	ds_read_b128 v[8:11], v117 offset:3632
	ds_read_b128 v[12:15], v117 offset:3968
	v_add_co_u32_e32 v16, vcc, s4, v16
	v_addc_co_u32_e32 v17, vcc, v17, v0, vcc
	s_waitcnt vmcnt(0) lgkmcnt(1)
	v_mul_f64 v[18:19], v[10:11], v[6:7]
	v_mul_f64 v[6:7], v[8:9], v[6:7]
	v_fma_f64 v[8:9], v[8:9], v[4:5], v[18:19]
	v_fma_f64 v[6:7], v[4:5], v[10:11], -v[6:7]
	v_or_b32_e32 v18, 0xf8, v146
	v_mad_u64_u32 v[10:11], s[10:11], s8, v18, 0
	v_mov_b32_e32 v1, v11
	v_mul_f64 v[4:5], v[8:9], s[2:3]
	v_mul_f64 v[6:7], v[6:7], s[2:3]
	global_store_dwordx4 v[16:17], v[4:7], off
	global_load_dwordx4 v[4:7], v[20:21], off offset:3968
	s_waitcnt vmcnt(0) lgkmcnt(0)
	v_mul_f64 v[8:9], v[14:15], v[6:7]
	v_mul_f64 v[6:7], v[12:13], v[6:7]
	v_fma_f64 v[8:9], v[12:13], v[4:5], v[8:9]
	v_fma_f64 v[6:7], v[4:5], v[14:15], -v[6:7]
	v_mad_u64_u32 v[11:12], s[10:11], s9, v18, v[1:2]
	v_add_co_u32_e32 v18, vcc, s5, v20
	v_addc_co_u32_e32 v19, vcc, 0, v21, vcc
	v_mul_f64 v[4:5], v[8:9], s[2:3]
	v_mul_f64 v[6:7], v[6:7], s[2:3]
	v_lshlrev_b64 v[8:9], 4, v[10:11]
	v_mov_b32_e32 v1, s1
	v_add_co_u32_e32 v8, vcc, v2, v8
	v_addc_co_u32_e32 v9, vcc, v3, v9, vcc
	global_store_dwordx4 v[8:9], v[4:7], off
	global_load_dwordx4 v[4:7], v[18:19], off offset:208
	ds_read_b128 v[8:11], v117 offset:4304
	ds_read_b128 v[12:15], v117 offset:4640
	s_waitcnt vmcnt(0) lgkmcnt(1)
	v_mul_f64 v[20:21], v[10:11], v[6:7]
	v_mul_f64 v[6:7], v[8:9], v[6:7]
	v_fma_f64 v[8:9], v[8:9], v[4:5], v[20:21]
	v_fma_f64 v[6:7], v[4:5], v[10:11], -v[6:7]
	v_mul_f64 v[4:5], v[8:9], s[2:3]
	v_mul_f64 v[6:7], v[6:7], s[2:3]
	v_add_co_u32_e32 v8, vcc, s0, v16
	v_addc_co_u32_e32 v9, vcc, v17, v1, vcc
	v_add_co_u32_e32 v16, vcc, s4, v8
	v_addc_co_u32_e32 v17, vcc, v9, v0, vcc
	global_store_dwordx4 v[8:9], v[4:7], off
	global_load_dwordx4 v[4:7], v[18:19], off offset:544
	s_waitcnt vmcnt(0) lgkmcnt(0)
	v_mul_f64 v[10:11], v[14:15], v[6:7]
	v_mul_f64 v[6:7], v[12:13], v[6:7]
	v_fma_f64 v[10:11], v[12:13], v[4:5], v[10:11]
	v_fma_f64 v[6:7], v[4:5], v[14:15], -v[6:7]
	v_mul_f64 v[4:5], v[10:11], s[2:3]
	v_mul_f64 v[6:7], v[6:7], s[2:3]
	global_store_dwordx4 v[16:17], v[4:7], off
	global_load_dwordx4 v[4:7], v[18:19], off offset:880
	ds_read_b128 v[8:11], v117 offset:4976
	ds_read_b128 v[12:15], v117 offset:5312
	s_waitcnt vmcnt(0) lgkmcnt(1)
	v_mul_f64 v[20:21], v[10:11], v[6:7]
	v_mul_f64 v[6:7], v[8:9], v[6:7]
	v_fma_f64 v[8:9], v[8:9], v[4:5], v[20:21]
	v_fma_f64 v[6:7], v[4:5], v[10:11], -v[6:7]
	v_or_b32_e32 v20, 0x14c, v146
	v_lshlrev_b32_e32 v1, 4, v20
	v_mul_f64 v[4:5], v[8:9], s[2:3]
	v_mul_f64 v[6:7], v[6:7], s[2:3]
	v_add_co_u32_e32 v8, vcc, s4, v16
	v_addc_co_u32_e32 v9, vcc, v17, v0, vcc
	v_mad_u64_u32 v[10:11], s[4:5], s8, v20, 0
	global_store_dwordx4 v[8:9], v[4:7], off
	global_load_dwordx4 v[4:7], v1, s[6:7]
	s_waitcnt vmcnt(0) lgkmcnt(0)
	v_mul_f64 v[0:1], v[14:15], v[6:7]
	v_mul_f64 v[6:7], v[12:13], v[6:7]
	v_fma_f64 v[0:1], v[12:13], v[4:5], v[0:1]
	v_fma_f64 v[6:7], v[4:5], v[14:15], -v[6:7]
	v_mov_b32_e32 v4, v11
	v_mad_u64_u32 v[11:12], s[4:5], s9, v20, v[4:5]
	v_mul_f64 v[4:5], v[0:1], s[2:3]
	v_mul_f64 v[6:7], v[6:7], s[2:3]
	v_lshlrev_b64 v[0:1], 4, v[10:11]
	v_add_co_u32_e32 v0, vcc, v2, v0
	v_addc_co_u32_e32 v1, vcc, v3, v1, vcc
	global_store_dwordx4 v[0:1], v[4:7], off
	global_load_dwordx4 v[0:3], v[18:19], off offset:1552
	ds_read_b128 v[4:7], v117 offset:5648
	s_waitcnt vmcnt(0) lgkmcnt(0)
	v_mul_f64 v[10:11], v[6:7], v[2:3]
	v_mul_f64 v[2:3], v[4:5], v[2:3]
	v_fma_f64 v[4:5], v[4:5], v[0:1], v[10:11]
	v_fma_f64 v[2:3], v[0:1], v[6:7], -v[2:3]
	v_mul_f64 v[0:1], v[4:5], s[2:3]
	v_mul_f64 v[2:3], v[2:3], s[2:3]
	v_mov_b32_e32 v5, s1
	v_add_co_u32_e32 v4, vcc, s0, v8
	v_addc_co_u32_e32 v5, vcc, v9, v5, vcc
	global_store_dwordx4 v[4:5], v[0:3], off
.LBB0_15:
	s_endpgm
	.section	.rodata,"a",@progbits
	.p2align	6, 0x0
	.amdhsa_kernel bluestein_single_fwd_len357_dim1_dp_op_CI_CI
		.amdhsa_group_segment_fixed_size 62832
		.amdhsa_private_segment_fixed_size 1012
		.amdhsa_kernarg_size 104
		.amdhsa_user_sgpr_count 6
		.amdhsa_user_sgpr_private_segment_buffer 1
		.amdhsa_user_sgpr_dispatch_ptr 0
		.amdhsa_user_sgpr_queue_ptr 0
		.amdhsa_user_sgpr_kernarg_segment_ptr 1
		.amdhsa_user_sgpr_dispatch_id 0
		.amdhsa_user_sgpr_flat_scratch_init 0
		.amdhsa_user_sgpr_private_segment_size 0
		.amdhsa_uses_dynamic_stack 0
		.amdhsa_system_sgpr_private_segment_wavefront_offset 1
		.amdhsa_system_sgpr_workgroup_id_x 1
		.amdhsa_system_sgpr_workgroup_id_y 0
		.amdhsa_system_sgpr_workgroup_id_z 0
		.amdhsa_system_sgpr_workgroup_info 0
		.amdhsa_system_vgpr_workitem_id 0
		.amdhsa_next_free_vgpr 256
		.amdhsa_next_free_sgpr 64
		.amdhsa_reserve_vcc 1
		.amdhsa_reserve_flat_scratch 0
		.amdhsa_float_round_mode_32 0
		.amdhsa_float_round_mode_16_64 0
		.amdhsa_float_denorm_mode_32 3
		.amdhsa_float_denorm_mode_16_64 3
		.amdhsa_dx10_clamp 1
		.amdhsa_ieee_mode 1
		.amdhsa_fp16_overflow 0
		.amdhsa_exception_fp_ieee_invalid_op 0
		.amdhsa_exception_fp_denorm_src 0
		.amdhsa_exception_fp_ieee_div_zero 0
		.amdhsa_exception_fp_ieee_overflow 0
		.amdhsa_exception_fp_ieee_underflow 0
		.amdhsa_exception_fp_ieee_inexact 0
		.amdhsa_exception_int_div_zero 0
	.end_amdhsa_kernel
	.text
.Lfunc_end0:
	.size	bluestein_single_fwd_len357_dim1_dp_op_CI_CI, .Lfunc_end0-bluestein_single_fwd_len357_dim1_dp_op_CI_CI
                                        ; -- End function
	.section	.AMDGPU.csdata,"",@progbits
; Kernel info:
; codeLenInByte = 50392
; NumSgprs: 68
; NumVgprs: 256
; ScratchSize: 1012
; MemoryBound: 0
; FloatMode: 240
; IeeeMode: 1
; LDSByteSize: 62832 bytes/workgroup (compile time only)
; SGPRBlocks: 8
; VGPRBlocks: 63
; NumSGPRsForWavesPerEU: 68
; NumVGPRsForWavesPerEU: 256
; Occupancy: 1
; WaveLimiterHint : 1
; COMPUTE_PGM_RSRC2:SCRATCH_EN: 1
; COMPUTE_PGM_RSRC2:USER_SGPR: 6
; COMPUTE_PGM_RSRC2:TRAP_HANDLER: 0
; COMPUTE_PGM_RSRC2:TGID_X_EN: 1
; COMPUTE_PGM_RSRC2:TGID_Y_EN: 0
; COMPUTE_PGM_RSRC2:TGID_Z_EN: 0
; COMPUTE_PGM_RSRC2:TIDIG_COMP_CNT: 0
	.type	__hip_cuid_f75fd6e7d01754b0,@object ; @__hip_cuid_f75fd6e7d01754b0
	.section	.bss,"aw",@nobits
	.globl	__hip_cuid_f75fd6e7d01754b0
__hip_cuid_f75fd6e7d01754b0:
	.byte	0                               ; 0x0
	.size	__hip_cuid_f75fd6e7d01754b0, 1

	.ident	"AMD clang version 19.0.0git (https://github.com/RadeonOpenCompute/llvm-project roc-6.4.0 25133 c7fe45cf4b819c5991fe208aaa96edf142730f1d)"
	.section	".note.GNU-stack","",@progbits
	.addrsig
	.addrsig_sym __hip_cuid_f75fd6e7d01754b0
	.amdgpu_metadata
---
amdhsa.kernels:
  - .args:
      - .actual_access:  read_only
        .address_space:  global
        .offset:         0
        .size:           8
        .value_kind:     global_buffer
      - .actual_access:  read_only
        .address_space:  global
        .offset:         8
        .size:           8
        .value_kind:     global_buffer
      - .actual_access:  read_only
        .address_space:  global
        .offset:         16
        .size:           8
        .value_kind:     global_buffer
      - .actual_access:  read_only
        .address_space:  global
        .offset:         24
        .size:           8
        .value_kind:     global_buffer
      - .actual_access:  read_only
        .address_space:  global
        .offset:         32
        .size:           8
        .value_kind:     global_buffer
      - .offset:         40
        .size:           8
        .value_kind:     by_value
      - .address_space:  global
        .offset:         48
        .size:           8
        .value_kind:     global_buffer
      - .address_space:  global
        .offset:         56
        .size:           8
        .value_kind:     global_buffer
      - .address_space:  global
        .offset:         64
        .size:           8
        .value_kind:     global_buffer
      - .address_space:  global
        .offset:         72
        .size:           8
        .value_kind:     global_buffer
      - .offset:         80
        .size:           4
        .value_kind:     by_value
      - .address_space:  global
        .offset:         88
        .size:           8
        .value_kind:     global_buffer
      - .address_space:  global
        .offset:         96
        .size:           8
        .value_kind:     global_buffer
    .group_segment_fixed_size: 62832
    .kernarg_segment_align: 8
    .kernarg_segment_size: 104
    .language:       OpenCL C
    .language_version:
      - 2
      - 0
    .max_flat_workgroup_size: 187
    .name:           bluestein_single_fwd_len357_dim1_dp_op_CI_CI
    .private_segment_fixed_size: 1012
    .sgpr_count:     68
    .sgpr_spill_count: 0
    .symbol:         bluestein_single_fwd_len357_dim1_dp_op_CI_CI.kd
    .uniform_work_group_size: 1
    .uses_dynamic_stack: false
    .vgpr_count:     256
    .vgpr_spill_count: 373
    .wavefront_size: 64
amdhsa.target:   amdgcn-amd-amdhsa--gfx906
amdhsa.version:
  - 1
  - 2
...

	.end_amdgpu_metadata
